;; amdgpu-corpus repo=LLNL/RAJAPerf kind=compiled arch=gfx90a opt=O3
	.text
	.amdgcn_target "amdgcn-amd-amdhsa--gfx90a"
	.amdhsa_code_object_version 6
	.section	.text._ZN8rajaperf5basic10reduce3intILm256EEEvPiS2_iS2_iS2_il,"axG",@progbits,_ZN8rajaperf5basic10reduce3intILm256EEEvPiS2_iS2_iS2_il,comdat
	.protected	_ZN8rajaperf5basic10reduce3intILm256EEEvPiS2_iS2_iS2_il ; -- Begin function _ZN8rajaperf5basic10reduce3intILm256EEEvPiS2_iS2_iS2_il
	.globl	_ZN8rajaperf5basic10reduce3intILm256EEEvPiS2_iS2_iS2_il
	.p2align	8
	.type	_ZN8rajaperf5basic10reduce3intILm256EEEvPiS2_iS2_iS2_il,@function
_ZN8rajaperf5basic10reduce3intILm256EEEvPiS2_iS2_iS2_il: ; @_ZN8rajaperf5basic10reduce3intILm256EEEvPiS2_iS2_iS2_il
; %bb.0:
	s_load_dwordx4 s[0:3], s[4:5], 0x0
	s_load_dword s14, s[4:5], 0x10
	s_load_dword s15, s[4:5], 0x20
	;; [unrolled: 1-line block ×3, first 2 shown]
	s_load_dwordx2 s[8:9], s[4:5], 0x38
	s_mov_b32 s7, 0
	s_lshl_b64 s[10:11], s[6:7], 8
	v_or_b32_e32 v2, s10, v0
	v_mov_b32_e32 v3, s11
	v_lshl_add_u32 v1, v0, 2, 0
	s_waitcnt lgkmcnt(0)
	v_mov_b32_e32 v4, s14
	v_mov_b32_e32 v5, s15
	ds_write2st64_b32 v1, v4, v5 offset1:4
	v_mov_b32_e32 v4, s16
	v_cmp_gt_i64_e32 vcc, s[8:9], v[2:3]
	ds_write_b32 v1, v4 offset:2048
	s_and_saveexec_b64 s[10:11], vcc
	s_cbranch_execz .LBB0_4
; %bb.1:
	s_load_dword s12, s[4:5], 0x40
	s_mov_b32 s13, s7
	s_lshl_b64 s[18:19], s[6:7], 10
	v_lshlrev_b32_e32 v4, 2, v0
	v_mov_b32_e32 v6, s16
	s_waitcnt lgkmcnt(0)
	s_lshl_b64 s[6:7], s[12:13], 8
	s_add_u32 s0, s0, s18
	s_addc_u32 s1, s1, s19
	v_mov_b32_e32 v5, s1
	v_add_co_u32_e32 v4, vcc, s0, v4
	s_lshl_b64 s[12:13], s[12:13], 10
	v_addc_co_u32_e32 v5, vcc, 0, v5, vcc
	s_mov_b64 s[0:1], 0
	v_mov_b32_e32 v7, s15
	v_mov_b32_e32 v8, s14
	;; [unrolled: 1-line block ×4, first 2 shown]
.LBB0_2:                                ; =>This Inner Loop Header: Depth=1
	global_load_dword v11, v[4:5], off
	v_add_co_u32_e32 v2, vcc, s6, v2
	v_addc_co_u32_e32 v3, vcc, v3, v9, vcc
	v_add_co_u32_e32 v4, vcc, s12, v4
	v_addc_co_u32_e32 v5, vcc, v5, v10, vcc
	v_cmp_le_i64_e32 vcc, s[8:9], v[2:3]
	s_or_b64 s[0:1], vcc, s[0:1]
	s_waitcnt vmcnt(0)
	v_add_u32_e32 v8, v8, v11
	v_min_i32_e32 v7, v11, v7
	v_max_i32_e32 v6, v11, v6
	s_andn2_b64 exec, exec, s[0:1]
	s_cbranch_execnz .LBB0_2
; %bb.3:
	s_or_b64 exec, exec, s[0:1]
	ds_write2st64_b32 v1, v8, v7 offset1:4
	ds_write_b32 v1, v6 offset:2048
.LBB0_4:
	s_or_b64 exec, exec, s[10:11]
	s_movk_i32 s0, 0x80
	v_cmp_gt_u32_e32 vcc, s0, v0
	s_waitcnt lgkmcnt(0)
	s_barrier
	s_and_saveexec_b64 s[0:1], vcc
	s_cbranch_execz .LBB0_6
; %bb.5:
	ds_read2st64_b32 v[2:3], v1 offset1:2
	ds_read2st64_b32 v[4:5], v1 offset0:4 offset1:6
	ds_read2st64_b32 v[6:7], v1 offset0:8 offset1:10
	s_waitcnt lgkmcnt(2)
	v_add_u32_e32 v2, v2, v3
	s_waitcnt lgkmcnt(1)
	v_min_i32_e32 v3, v5, v4
	s_waitcnt lgkmcnt(0)
	v_max_i32_e32 v4, v7, v6
	ds_write2st64_b32 v1, v2, v3 offset1:4
	ds_write_b32 v1, v4 offset:2048
.LBB0_6:
	s_or_b64 exec, exec, s[0:1]
	v_cmp_gt_u32_e32 vcc, 64, v0
	s_waitcnt lgkmcnt(0)
	s_barrier
	s_and_saveexec_b64 s[0:1], vcc
	s_cbranch_execz .LBB0_8
; %bb.7:
	ds_read2st64_b32 v[2:3], v1 offset1:1
	ds_read2st64_b32 v[4:5], v1 offset0:4 offset1:5
	ds_read2st64_b32 v[6:7], v1 offset0:8 offset1:9
	s_waitcnt lgkmcnt(2)
	v_add_u32_e32 v2, v2, v3
	s_waitcnt lgkmcnt(1)
	v_min_i32_e32 v3, v5, v4
	s_waitcnt lgkmcnt(0)
	v_max_i32_e32 v4, v7, v6
	ds_write2st64_b32 v1, v2, v3 offset1:4
	ds_write_b32 v1, v4 offset:2048
.LBB0_8:
	s_or_b64 exec, exec, s[0:1]
	v_cmp_gt_u32_e32 vcc, 32, v0
	s_waitcnt lgkmcnt(0)
	s_barrier
	s_and_saveexec_b64 s[0:1], vcc
	s_cbranch_execz .LBB0_10
; %bb.9:
	v_add_u32_e32 v4, 0x400, v1
	ds_read2_b32 v[2:3], v1 offset1:32
	ds_read2_b32 v[4:5], v4 offset1:32
	v_add_u32_e32 v6, 0x800, v1
	ds_read2_b32 v[6:7], v6 offset1:32
	s_waitcnt lgkmcnt(2)
	v_add_u32_e32 v2, v2, v3
	s_waitcnt lgkmcnt(1)
	v_min_i32_e32 v3, v5, v4
	ds_write2st64_b32 v1, v2, v3 offset1:4
	s_waitcnt lgkmcnt(1)
	v_max_i32_e32 v2, v7, v6
	ds_write_b32 v1, v2 offset:2048
.LBB0_10:
	s_or_b64 exec, exec, s[0:1]
	v_cmp_gt_u32_e32 vcc, 16, v0
	s_waitcnt lgkmcnt(0)
	s_barrier
	s_and_saveexec_b64 s[0:1], vcc
	s_cbranch_execz .LBB0_12
; %bb.11:
	v_add_u32_e32 v4, 0x400, v1
	ds_read2_b32 v[2:3], v1 offset1:16
	ds_read2_b32 v[4:5], v4 offset1:16
	v_add_u32_e32 v6, 0x800, v1
	ds_read2_b32 v[6:7], v6 offset1:16
	s_waitcnt lgkmcnt(2)
	v_add_u32_e32 v2, v2, v3
	s_waitcnt lgkmcnt(1)
	v_min_i32_e32 v3, v5, v4
	ds_write2st64_b32 v1, v2, v3 offset1:4
	s_waitcnt lgkmcnt(1)
	v_max_i32_e32 v2, v7, v6
	ds_write_b32 v1, v2 offset:2048
.LBB0_12:
	;; [unrolled: 21-line block ×5, first 2 shown]
	s_or_b64 exec, exec, s[0:1]
	v_cmp_eq_u32_e32 vcc, 0, v0
	s_waitcnt lgkmcnt(0)
	s_barrier
	s_and_saveexec_b64 s[0:1], vcc
	s_cbranch_execz .LBB0_20
; %bb.19:
	v_mov_b32_e32 v0, 0
	v_add_u32_e32 v2, 0x400, v1
	v_add_u32_e32 v4, 0x800, v1
	ds_read2_b32 v[2:3], v2 offset1:1
	ds_read2_b32 v[4:5], v4 offset1:1
	ds_read_b32 v0, v0 offset:4
	ds_read_b32 v6, v1
	s_waitcnt lgkmcnt(3)
	v_min_i32_e32 v2, v3, v2
	s_waitcnt lgkmcnt(0)
	v_add_u32_e32 v0, v6, v0
	ds_write2st64_b32 v1, v0, v2 offset1:4
	v_max_i32_e32 v0, v5, v4
	ds_write_b32 v1, v0 offset:2048
.LBB0_20:
	s_or_b64 exec, exec, s[0:1]
	s_waitcnt lgkmcnt(0)
	s_barrier
	s_and_saveexec_b64 s[0:1], vcc
	s_cbranch_execz .LBB0_27
; %bb.21:
	s_mov_b64 s[6:7], exec
	v_mbcnt_lo_u32_b32 v0, s6, 0
	v_mbcnt_hi_u32_b32 v0, s7, v0
	v_cmp_eq_u32_e32 vcc, 0, v0
	s_and_saveexec_b64 s[0:1], vcc
	s_cbranch_execz .LBB0_23
; %bb.22:
	v_mov_b32_e32 v0, 0
	ds_read_b32 v1, v0
	s_bcnt1_i32_b64 s6, s[6:7]
	s_waitcnt lgkmcnt(0)
	v_mul_lo_u32 v1, v1, s6
	global_atomic_add v0, v1, s[2:3]
.LBB0_23:
	s_or_b64 exec, exec, s[0:1]
	v_mbcnt_lo_u32_b32 v0, exec_lo, 0
	v_mbcnt_hi_u32_b32 v0, exec_hi, v0
	v_cmp_eq_u32_e32 vcc, 0, v0
	s_and_saveexec_b64 s[0:1], vcc
	s_cbranch_execz .LBB0_25
; %bb.24:
	v_mov_b32_e32 v0, 0
	ds_read_b32 v1, v0 offset:1024
	s_load_dwordx2 s[2:3], s[4:5], 0x18
	s_waitcnt lgkmcnt(0)
	global_atomic_smin v0, v1, s[2:3]
.LBB0_25:
	s_or_b64 exec, exec, s[0:1]
	v_mbcnt_lo_u32_b32 v0, exec_lo, 0
	v_mbcnt_hi_u32_b32 v0, exec_hi, v0
	v_cmp_eq_u32_e32 vcc, 0, v0
	s_and_b64 exec, exec, vcc
	s_cbranch_execz .LBB0_27
; %bb.26:
	v_mov_b32_e32 v0, 0
	ds_read_b32 v1, v0 offset:2048
	s_load_dwordx2 s[0:1], s[4:5], 0x28
	s_waitcnt lgkmcnt(0)
	global_atomic_smax v0, v1, s[0:1]
.LBB0_27:
	s_endpgm
	.section	.rodata,"a",@progbits
	.p2align	6, 0x0
	.amdhsa_kernel _ZN8rajaperf5basic10reduce3intILm256EEEvPiS2_iS2_iS2_il
		.amdhsa_group_segment_fixed_size 0
		.amdhsa_private_segment_fixed_size 0
		.amdhsa_kernarg_size 320
		.amdhsa_user_sgpr_count 6
		.amdhsa_user_sgpr_private_segment_buffer 1
		.amdhsa_user_sgpr_dispatch_ptr 0
		.amdhsa_user_sgpr_queue_ptr 0
		.amdhsa_user_sgpr_kernarg_segment_ptr 1
		.amdhsa_user_sgpr_dispatch_id 0
		.amdhsa_user_sgpr_flat_scratch_init 0
		.amdhsa_user_sgpr_kernarg_preload_length 0
		.amdhsa_user_sgpr_kernarg_preload_offset 0
		.amdhsa_user_sgpr_private_segment_size 0
		.amdhsa_uses_dynamic_stack 0
		.amdhsa_system_sgpr_private_segment_wavefront_offset 0
		.amdhsa_system_sgpr_workgroup_id_x 1
		.amdhsa_system_sgpr_workgroup_id_y 0
		.amdhsa_system_sgpr_workgroup_id_z 0
		.amdhsa_system_sgpr_workgroup_info 0
		.amdhsa_system_vgpr_workitem_id 0
		.amdhsa_next_free_vgpr 12
		.amdhsa_next_free_sgpr 20
		.amdhsa_accum_offset 12
		.amdhsa_reserve_vcc 1
		.amdhsa_reserve_flat_scratch 0
		.amdhsa_float_round_mode_32 0
		.amdhsa_float_round_mode_16_64 0
		.amdhsa_float_denorm_mode_32 3
		.amdhsa_float_denorm_mode_16_64 3
		.amdhsa_dx10_clamp 1
		.amdhsa_ieee_mode 1
		.amdhsa_fp16_overflow 0
		.amdhsa_tg_split 0
		.amdhsa_exception_fp_ieee_invalid_op 0
		.amdhsa_exception_fp_denorm_src 0
		.amdhsa_exception_fp_ieee_div_zero 0
		.amdhsa_exception_fp_ieee_overflow 0
		.amdhsa_exception_fp_ieee_underflow 0
		.amdhsa_exception_fp_ieee_inexact 0
		.amdhsa_exception_int_div_zero 0
	.end_amdhsa_kernel
	.section	.text._ZN8rajaperf5basic10reduce3intILm256EEEvPiS2_iS2_iS2_il,"axG",@progbits,_ZN8rajaperf5basic10reduce3intILm256EEEvPiS2_iS2_iS2_il,comdat
.Lfunc_end0:
	.size	_ZN8rajaperf5basic10reduce3intILm256EEEvPiS2_iS2_iS2_il, .Lfunc_end0-_ZN8rajaperf5basic10reduce3intILm256EEEvPiS2_iS2_iS2_il
                                        ; -- End function
	.section	.AMDGPU.csdata,"",@progbits
; Kernel info:
; codeLenInByte = 1292
; NumSgprs: 24
; NumVgprs: 12
; NumAgprs: 0
; TotalNumVgprs: 12
; ScratchSize: 0
; MemoryBound: 0
; FloatMode: 240
; IeeeMode: 1
; LDSByteSize: 0 bytes/workgroup (compile time only)
; SGPRBlocks: 2
; VGPRBlocks: 1
; NumSGPRsForWavesPerEU: 24
; NumVGPRsForWavesPerEU: 12
; AccumOffset: 12
; Occupancy: 8
; WaveLimiterHint : 0
; COMPUTE_PGM_RSRC2:SCRATCH_EN: 0
; COMPUTE_PGM_RSRC2:USER_SGPR: 6
; COMPUTE_PGM_RSRC2:TRAP_HANDLER: 0
; COMPUTE_PGM_RSRC2:TGID_X_EN: 1
; COMPUTE_PGM_RSRC2:TGID_Y_EN: 0
; COMPUTE_PGM_RSRC2:TGID_Z_EN: 0
; COMPUTE_PGM_RSRC2:TIDIG_COMP_CNT: 0
; COMPUTE_PGM_RSRC3_GFX90A:ACCUM_OFFSET: 2
; COMPUTE_PGM_RSRC3_GFX90A:TG_SPLIT: 0
	.section	.text._ZN4RAJA6policy3hip4impl18forallp_hip_kernelINS1_8hip_execINS_17iteration_mapping6DirectENS_3hip11IndexGlobalILNS_9named_dimE0ELi256ELi0EEENS7_40AvoidDeviceMaxThreadOccupancyConcretizerINS7_34FractionOffsetOccupancyConcretizerINS_8FractionImLm1ELm1EEELln1EEEEELb1EEENS_9Iterators16numeric_iteratorIllPlEEZN8rajaperf5basic11REDUCE3_INT17runHipVariantRAJAILm256ENSM_13gpu_algorithm19block_atomic_helperENSM_11gpu_mapping20global_direct_helperEEEvNSM_9VariantIDEEUllE_lNS_4expt15ForallParamPackIJEEES6_SA_TnNSt9enable_ifIXaasr3std10is_base_ofINS5_10DirectBaseET4_EE5valuegtsrT5_10block_sizeLi0EEmE4typeELm256EEEvT1_T0_T2_T3_,"axG",@progbits,_ZN4RAJA6policy3hip4impl18forallp_hip_kernelINS1_8hip_execINS_17iteration_mapping6DirectENS_3hip11IndexGlobalILNS_9named_dimE0ELi256ELi0EEENS7_40AvoidDeviceMaxThreadOccupancyConcretizerINS7_34FractionOffsetOccupancyConcretizerINS_8FractionImLm1ELm1EEELln1EEEEELb1EEENS_9Iterators16numeric_iteratorIllPlEEZN8rajaperf5basic11REDUCE3_INT17runHipVariantRAJAILm256ENSM_13gpu_algorithm19block_atomic_helperENSM_11gpu_mapping20global_direct_helperEEEvNSM_9VariantIDEEUllE_lNS_4expt15ForallParamPackIJEEES6_SA_TnNSt9enable_ifIXaasr3std10is_base_ofINS5_10DirectBaseET4_EE5valuegtsrT5_10block_sizeLi0EEmE4typeELm256EEEvT1_T0_T2_T3_,comdat
	.protected	_ZN4RAJA6policy3hip4impl18forallp_hip_kernelINS1_8hip_execINS_17iteration_mapping6DirectENS_3hip11IndexGlobalILNS_9named_dimE0ELi256ELi0EEENS7_40AvoidDeviceMaxThreadOccupancyConcretizerINS7_34FractionOffsetOccupancyConcretizerINS_8FractionImLm1ELm1EEELln1EEEEELb1EEENS_9Iterators16numeric_iteratorIllPlEEZN8rajaperf5basic11REDUCE3_INT17runHipVariantRAJAILm256ENSM_13gpu_algorithm19block_atomic_helperENSM_11gpu_mapping20global_direct_helperEEEvNSM_9VariantIDEEUllE_lNS_4expt15ForallParamPackIJEEES6_SA_TnNSt9enable_ifIXaasr3std10is_base_ofINS5_10DirectBaseET4_EE5valuegtsrT5_10block_sizeLi0EEmE4typeELm256EEEvT1_T0_T2_T3_ ; -- Begin function _ZN4RAJA6policy3hip4impl18forallp_hip_kernelINS1_8hip_execINS_17iteration_mapping6DirectENS_3hip11IndexGlobalILNS_9named_dimE0ELi256ELi0EEENS7_40AvoidDeviceMaxThreadOccupancyConcretizerINS7_34FractionOffsetOccupancyConcretizerINS_8FractionImLm1ELm1EEELln1EEEEELb1EEENS_9Iterators16numeric_iteratorIllPlEEZN8rajaperf5basic11REDUCE3_INT17runHipVariantRAJAILm256ENSM_13gpu_algorithm19block_atomic_helperENSM_11gpu_mapping20global_direct_helperEEEvNSM_9VariantIDEEUllE_lNS_4expt15ForallParamPackIJEEES6_SA_TnNSt9enable_ifIXaasr3std10is_base_ofINS5_10DirectBaseET4_EE5valuegtsrT5_10block_sizeLi0EEmE4typeELm256EEEvT1_T0_T2_T3_
	.globl	_ZN4RAJA6policy3hip4impl18forallp_hip_kernelINS1_8hip_execINS_17iteration_mapping6DirectENS_3hip11IndexGlobalILNS_9named_dimE0ELi256ELi0EEENS7_40AvoidDeviceMaxThreadOccupancyConcretizerINS7_34FractionOffsetOccupancyConcretizerINS_8FractionImLm1ELm1EEELln1EEEEELb1EEENS_9Iterators16numeric_iteratorIllPlEEZN8rajaperf5basic11REDUCE3_INT17runHipVariantRAJAILm256ENSM_13gpu_algorithm19block_atomic_helperENSM_11gpu_mapping20global_direct_helperEEEvNSM_9VariantIDEEUllE_lNS_4expt15ForallParamPackIJEEES6_SA_TnNSt9enable_ifIXaasr3std10is_base_ofINS5_10DirectBaseET4_EE5valuegtsrT5_10block_sizeLi0EEmE4typeELm256EEEvT1_T0_T2_T3_
	.p2align	8
	.type	_ZN4RAJA6policy3hip4impl18forallp_hip_kernelINS1_8hip_execINS_17iteration_mapping6DirectENS_3hip11IndexGlobalILNS_9named_dimE0ELi256ELi0EEENS7_40AvoidDeviceMaxThreadOccupancyConcretizerINS7_34FractionOffsetOccupancyConcretizerINS_8FractionImLm1ELm1EEELln1EEEEELb1EEENS_9Iterators16numeric_iteratorIllPlEEZN8rajaperf5basic11REDUCE3_INT17runHipVariantRAJAILm256ENSM_13gpu_algorithm19block_atomic_helperENSM_11gpu_mapping20global_direct_helperEEEvNSM_9VariantIDEEUllE_lNS_4expt15ForallParamPackIJEEES6_SA_TnNSt9enable_ifIXaasr3std10is_base_ofINS5_10DirectBaseET4_EE5valuegtsrT5_10block_sizeLi0EEmE4typeELm256EEEvT1_T0_T2_T3_,@function
_ZN4RAJA6policy3hip4impl18forallp_hip_kernelINS1_8hip_execINS_17iteration_mapping6DirectENS_3hip11IndexGlobalILNS_9named_dimE0ELi256ELi0EEENS7_40AvoidDeviceMaxThreadOccupancyConcretizerINS7_34FractionOffsetOccupancyConcretizerINS_8FractionImLm1ELm1EEELln1EEEEELb1EEENS_9Iterators16numeric_iteratorIllPlEEZN8rajaperf5basic11REDUCE3_INT17runHipVariantRAJAILm256ENSM_13gpu_algorithm19block_atomic_helperENSM_11gpu_mapping20global_direct_helperEEEvNSM_9VariantIDEEUllE_lNS_4expt15ForallParamPackIJEEES6_SA_TnNSt9enable_ifIXaasr3std10is_base_ofINS5_10DirectBaseET4_EE5valuegtsrT5_10block_sizeLi0EEmE4typeELm256EEEvT1_T0_T2_T3_: ; @_ZN4RAJA6policy3hip4impl18forallp_hip_kernelINS1_8hip_execINS_17iteration_mapping6DirectENS_3hip11IndexGlobalILNS_9named_dimE0ELi256ELi0EEENS7_40AvoidDeviceMaxThreadOccupancyConcretizerINS7_34FractionOffsetOccupancyConcretizerINS_8FractionImLm1ELm1EEELln1EEEEELb1EEENS_9Iterators16numeric_iteratorIllPlEEZN8rajaperf5basic11REDUCE3_INT17runHipVariantRAJAILm256ENSM_13gpu_algorithm19block_atomic_helperENSM_11gpu_mapping20global_direct_helperEEEvNSM_9VariantIDEEUllE_lNS_4expt15ForallParamPackIJEEES6_SA_TnNSt9enable_ifIXaasr3std10is_base_ofINS5_10DirectBaseET4_EE5valuegtsrT5_10block_sizeLi0EEmE4typeELm256EEEvT1_T0_T2_T3_
; %bb.0:
	s_load_dwordx4 s[12:15], s[4:5], 0x68
	s_load_dword s1, s[4:5], 0x14
	s_load_dword s9, s[4:5], 0x3c
	s_load_dwordx4 s[16:19], s[4:5], 0x48
	s_load_dword s20, s[4:5], 0x5c
	s_mov_b32 s0, s7
	s_mov_b32 s7, 0
	v_and_b32_e32 v4, 0x3ff, v0
	s_lshl_b64 s[2:3], s[6:7], 8
	v_or_b32_e32 v2, s2, v4
	v_mov_b32_e32 v3, s3
	s_waitcnt lgkmcnt(0)
	v_cmp_gt_i64_e32 vcc, s[14:15], v[2:3]
	v_mov_b32_e32 v1, s1
	v_mov_b32_e32 v5, s9
	;; [unrolled: 1-line block ×3, first 2 shown]
	s_and_saveexec_b64 s[2:3], vcc
	s_cbranch_execnz .LBB1_5
; %bb.1:
	s_or_b64 exec, exec, s[2:3]
	s_load_dwordx4 s[12:15], s[4:5], 0x28
	s_cmp_lg_u64 s[16:17], 0
	s_cbranch_scc0 .LBB1_6
.LBB1_2:
	s_load_dwordx4 s[16:19], s[4:5], 0x0
	s_waitcnt lgkmcnt(0)
	s_cmp_lg_u64 s[12:13], 0
	s_cbranch_scc0 .LBB1_20
.LBB1_3:
	s_waitcnt lgkmcnt(0)
	s_cmp_lg_u64 s[16:17], 0
	s_cbranch_scc0 .LBB1_34
.LBB1_4:
	s_endpgm
.LBB1_5:
	s_load_dwordx2 s[10:11], s[4:5], 0x20
	s_lshl_b64 s[12:13], s[12:13], 2
	v_lshlrev_b64 v[2:3], 2, v[2:3]
	s_waitcnt lgkmcnt(0)
	s_add_u32 s7, s12, s10
	s_addc_u32 s10, s13, s11
	v_mov_b32_e32 v1, s10
	v_add_co_u32_e32 v2, vcc, s7, v2
	v_addc_co_u32_e32 v3, vcc, v1, v3, vcc
	global_load_dword v2, v[2:3], off
	s_waitcnt vmcnt(0)
	v_add_u32_e32 v1, s1, v2
	v_min_i32_e32 v5, s9, v2
	v_max_i32_e32 v9, s20, v2
	s_or_b64 exec, exec, s[2:3]
	s_load_dwordx4 s[12:15], s[4:5], 0x28
	s_cmp_lg_u64 s[16:17], 0
	s_cbranch_scc1 .LBB1_2
.LBB1_6:
	s_load_dwordx2 s[10:11], s[4:5], 0x80
	s_add_u32 s2, s4, 0x80
	v_mov_b32_e32 v2, 0
	global_load_dword v3, v2, s[4:5] offset:142
	s_addc_u32 s3, s5, 0
	s_waitcnt lgkmcnt(0)
	s_cmp_lt_u32 s6, s10
	s_cselect_b32 s7, 12, 18
	s_add_u32 s2, s2, s7
	s_addc_u32 s3, s3, 0
	global_load_ushort v2, v2, s[2:3]
	v_bfe_u32 v6, v0, 10, 10
	v_bfe_u32 v7, v0, 20, 10
	s_mov_b32 s17, 0
	s_waitcnt vmcnt(1)
	v_readfirstlane_b32 s2, v3
	s_lshr_b32 s3, s2, 16
	s_and_b32 s2, s2, 0xffff
	s_waitcnt vmcnt(0)
	v_readfirstlane_b32 s7, v2
	s_mul_i32 s2, s2, s7
	v_mad_u32_u24 v6, v6, v2, v4
	v_mul_lo_u32 v7, s2, v7
	s_mul_i32 s2, s2, s3
	v_add_u32_e32 v3, v7, v6
	s_ashr_i32 s3, s2, 31
	s_and_b32 s16, s2, 63
	v_mbcnt_lo_u32_b32 v2, -1, 0
	v_ashrrev_i32_e32 v10, 31, v3
	s_cmp_eq_u64 s[16:17], 0
	v_mbcnt_hi_u32_b32 v8, -1, v2
	s_cbranch_scc1 .LBB1_47
; %bb.7:
	v_and_b32_e32 v2, 64, v8
	v_xor_b32_e32 v11, 1, v3
	v_and_or_b32 v12, v11, 63, v2
	v_lshlrev_b32_e32 v12, 2, v12
	ds_bpermute_b32 v12, v12, v9
	v_xor_b32_e32 v13, 2, v3
	v_and_or_b32 v14, v13, 63, v2
	v_cmp_gt_i32_e32 vcc, s2, v11
	s_waitcnt lgkmcnt(0)
	v_max_i32_e32 v12, v9, v12
	v_cndmask_b32_e32 v11, v9, v12, vcc
	v_lshlrev_b32_e32 v12, 2, v14
	ds_bpermute_b32 v12, v12, v11
	v_xor_b32_e32 v14, 4, v3
	v_and_or_b32 v15, v14, 63, v2
	v_cmp_gt_i32_e32 vcc, s2, v13
	v_xor_b32_e32 v13, 8, v3
	s_waitcnt lgkmcnt(0)
	v_max_i32_e32 v12, v11, v12
	v_cndmask_b32_e32 v11, v11, v12, vcc
	v_lshlrev_b32_e32 v12, 2, v15
	ds_bpermute_b32 v12, v12, v11
	v_and_or_b32 v15, v13, 63, v2
	v_cmp_gt_i32_e32 vcc, s2, v14
	v_xor_b32_e32 v14, 16, v3
	s_waitcnt lgkmcnt(0)
	v_max_i32_e32 v12, v11, v12
	v_cndmask_b32_e32 v11, v11, v12, vcc
	v_lshlrev_b32_e32 v12, 2, v15
	ds_bpermute_b32 v12, v12, v11
	v_and_or_b32 v15, v14, 63, v2
	v_cmp_gt_i32_e32 vcc, s2, v13
	v_xor_b32_e32 v13, 32, v3
	v_and_or_b32 v2, v13, 63, v2
	s_waitcnt lgkmcnt(0)
	v_max_i32_e32 v12, v11, v12
	v_cndmask_b32_e32 v11, v11, v12, vcc
	v_lshlrev_b32_e32 v12, 2, v15
	ds_bpermute_b32 v12, v12, v11
	v_cmp_gt_i32_e32 vcc, s2, v14
	v_lshlrev_b32_e32 v2, 2, v2
	s_waitcnt lgkmcnt(0)
	v_max_i32_e32 v12, v11, v12
	v_cndmask_b32_e32 v11, v11, v12, vcc
	ds_bpermute_b32 v2, v2, v11
	v_cmp_gt_i32_e32 vcc, s2, v13
	s_waitcnt lgkmcnt(0)
	v_max_i32_e32 v2, v11, v2
	v_cndmask_b32_e32 v11, v11, v2, vcc
	s_cbranch_execnz .LBB1_9
.LBB1_8:
	v_and_b32_e32 v2, 64, v8
	v_add_u32_e32 v2, 64, v2
	v_xor_b32_e32 v11, 1, v8
	v_cmp_lt_i32_e32 vcc, v11, v2
	v_cndmask_b32_e32 v11, v8, v11, vcc
	v_lshlrev_b32_e32 v11, 2, v11
	ds_bpermute_b32 v11, v11, v9
	v_xor_b32_e32 v12, 2, v8
	v_cmp_lt_i32_e32 vcc, v12, v2
	s_waitcnt lgkmcnt(0)
	v_max_i32_e32 v9, v9, v11
	v_cndmask_b32_e32 v11, v8, v12, vcc
	v_lshlrev_b32_e32 v11, 2, v11
	ds_bpermute_b32 v11, v11, v9
	v_xor_b32_e32 v12, 4, v8
	v_cmp_lt_i32_e32 vcc, v12, v2
	s_waitcnt lgkmcnt(0)
	v_max_i32_e32 v9, v9, v11
	;; [unrolled: 7-line block ×4, first 2 shown]
	v_cndmask_b32_e32 v11, v8, v12, vcc
	v_lshlrev_b32_e32 v11, 2, v11
	ds_bpermute_b32 v11, v11, v9
	v_xor_b32_e32 v12, 32, v8
	v_cmp_lt_i32_e32 vcc, v12, v2
	v_cndmask_b32_e32 v2, v8, v12, vcc
	v_lshlrev_b32_e32 v2, 2, v2
	s_waitcnt lgkmcnt(0)
	v_max_i32_e32 v9, v9, v11
	ds_bpermute_b32 v2, v2, v9
	s_waitcnt lgkmcnt(0)
	v_max_i32_e32 v11, v9, v2
.LBB1_9:
	s_cmpk_lt_i32 s2, 0x41
	s_cbranch_scc1 .LBB1_17
; %bb.10:
	v_lshrrev_b32_e32 v2, 26, v10
	v_add_u32_e32 v9, v3, v2
	v_and_b32_e32 v2, 0xffffffc0, v9
	v_sub_u32_e32 v2, v3, v2
	v_cmp_eq_u32_e32 vcc, 0, v2
	s_and_saveexec_b64 s[16:17], vcc
	s_cbranch_execz .LBB1_12
; %bb.11:
	v_ashrrev_i32_e32 v9, 6, v9
	v_lshlrev_b32_e32 v9, 2, v9
	ds_write_b32 v9, v11
.LBB1_12:
	s_or_b64 exec, exec, s[16:17]
	v_add_co_u32_e32 v12, vcc, 63, v3
	v_addc_co_u32_e32 v13, vcc, 0, v10, vcc
	s_mov_b64 s[16:17], 0x7f
	v_cmp_gt_u64_e32 vcc, s[16:17], v[12:13]
	s_waitcnt lgkmcnt(0)
	s_barrier
	s_and_saveexec_b64 s[16:17], vcc
	s_cbranch_execz .LBB1_16
; %bb.13:
	v_ashrrev_i32_e32 v3, 31, v2
	v_lshlrev_b64 v[10:11], 6, v[2:3]
	v_cmp_gt_i64_e32 vcc, s[2:3], v[10:11]
	v_mov_b32_e32 v3, s20
	s_and_saveexec_b64 s[2:3], vcc
	s_cbranch_execz .LBB1_15
; %bb.14:
	v_lshlrev_b32_e32 v2, 2, v2
	ds_read_b32 v3, v2
.LBB1_15:
	s_or_b64 exec, exec, s[2:3]
	v_and_b32_e32 v2, 64, v8
	v_add_u32_e32 v2, 64, v2
	v_xor_b32_e32 v9, 1, v8
	v_cmp_lt_i32_e32 vcc, v9, v2
	v_cndmask_b32_e32 v9, v8, v9, vcc
	v_lshlrev_b32_e32 v9, 2, v9
	s_waitcnt lgkmcnt(0)
	ds_bpermute_b32 v9, v9, v3
	v_xor_b32_e32 v10, 2, v8
	v_cmp_lt_i32_e32 vcc, v10, v2
	s_waitcnt lgkmcnt(0)
	v_max_i32_e32 v3, v3, v9
	v_cndmask_b32_e32 v9, v8, v10, vcc
	v_lshlrev_b32_e32 v9, 2, v9
	ds_bpermute_b32 v9, v9, v3
	v_xor_b32_e32 v10, 4, v8
	v_cmp_lt_i32_e32 vcc, v10, v2
	s_waitcnt lgkmcnt(0)
	v_max_i32_e32 v3, v3, v9
	v_cndmask_b32_e32 v9, v8, v10, vcc
	v_lshlrev_b32_e32 v9, 2, v9
	ds_bpermute_b32 v9, v9, v3
	v_xor_b32_e32 v10, 8, v8
	v_cmp_lt_i32_e32 vcc, v10, v2
	v_cndmask_b32_e32 v2, v8, v10, vcc
	v_lshlrev_b32_e32 v2, 2, v2
	s_waitcnt lgkmcnt(0)
	v_max_i32_e32 v3, v3, v9
	ds_bpermute_b32 v2, v2, v3
	s_waitcnt lgkmcnt(0)
	v_max_i32_e32 v11, v3, v2
.LBB1_16:
	s_or_b64 exec, exec, s[16:17]
	s_barrier
.LBB1_17:
	v_sub_u32_e32 v2, 0, v7
	v_cmp_eq_u32_e32 vcc, v6, v2
	v_cmp_ne_u32_e64 s[2:3], s20, v11
	s_and_b64 s[16:17], vcc, s[2:3]
	s_and_saveexec_b64 s[2:3], s[16:17]
	s_cbranch_execz .LBB1_19
; %bb.18:
	s_mul_i32 s7, s11, s8
	s_add_i32 s7, s7, s0
	s_mul_i32 s7, s7, s10
	s_add_i32 s7, s7, s6
	s_ashr_i32 s10, s7, 31
	s_lshr_b32 s10, s10, 27
	s_add_i32 s10, s7, s10
	s_and_b32 s10, s10, 0xfffffe0
	s_sub_i32 s7, s7, s10
	s_lshl_b32 s10, s7, 4
	s_ashr_i32 s11, s10, 31
	s_lshl_b64 s[10:11], s[10:11], 2
	s_add_u32 s10, s18, s10
	s_addc_u32 s11, s19, s11
	v_pk_mov_b32 v[2:3], s[10:11], s[10:11] op_sel:[0,1]
	flat_atomic_smax v[2:3], v11
.LBB1_19:
	s_or_b64 exec, exec, s[2:3]
	s_load_dwordx4 s[16:19], s[4:5], 0x0
	s_cmp_lg_u64 s[12:13], 0
	s_cbranch_scc1 .LBB1_3
.LBB1_20:
	s_load_dwordx2 s[10:11], s[4:5], 0x80
	s_add_u32 s2, s4, 0x80
	v_mov_b32_e32 v2, 0
	global_load_dword v3, v2, s[4:5] offset:142
	s_addc_u32 s3, s5, 0
	s_waitcnt lgkmcnt(0)
	s_cmp_lt_u32 s6, s10
	s_cselect_b32 s7, 12, 18
	s_add_u32 s2, s2, s7
	s_addc_u32 s3, s3, 0
	global_load_ushort v2, v2, s[2:3]
	v_bfe_u32 v6, v0, 10, 10
	v_bfe_u32 v7, v0, 20, 10
	s_mov_b32 s21, 0
	s_mov_b64 s[12:13], 0
	s_waitcnt vmcnt(0)
	v_readfirstlane_b32 s2, v3
	s_lshr_b32 s3, s2, 16
	s_and_b32 s2, s2, 0xffff
	v_readfirstlane_b32 s7, v2
	s_mul_i32 s2, s2, s7
	v_mad_u32_u24 v6, v6, v2, v4
	v_mul_lo_u32 v7, s2, v7
	s_mul_i32 s2, s2, s3
	v_add_u32_e32 v3, v7, v6
	s_ashr_i32 s3, s2, 31
	s_and_b32 s20, s2, 63
	v_mbcnt_lo_u32_b32 v2, -1, 0
	v_ashrrev_i32_e32 v9, 31, v3
	s_cmp_eq_u64 s[20:21], 0
	v_mbcnt_hi_u32_b32 v8, -1, v2
	s_cbranch_scc1 .LBB1_48
; %bb.21:
	v_and_b32_e32 v2, 64, v8
	v_xor_b32_e32 v10, 1, v3
	v_and_or_b32 v11, v10, 63, v2
	v_lshlrev_b32_e32 v11, 2, v11
	ds_bpermute_b32 v11, v11, v5
	v_xor_b32_e32 v12, 2, v3
	v_and_or_b32 v13, v12, 63, v2
	v_cmp_gt_i32_e32 vcc, s2, v10
	s_waitcnt lgkmcnt(0)
	v_min_i32_e32 v11, v11, v5
	v_cndmask_b32_e32 v10, v5, v11, vcc
	v_lshlrev_b32_e32 v11, 2, v13
	ds_bpermute_b32 v11, v11, v10
	v_xor_b32_e32 v13, 4, v3
	v_and_or_b32 v14, v13, 63, v2
	v_cmp_gt_i32_e32 vcc, s2, v12
	v_xor_b32_e32 v12, 8, v3
	s_waitcnt lgkmcnt(0)
	v_min_i32_e32 v11, v11, v10
	v_cndmask_b32_e32 v10, v10, v11, vcc
	v_lshlrev_b32_e32 v11, 2, v14
	ds_bpermute_b32 v11, v11, v10
	v_and_or_b32 v14, v12, 63, v2
	v_cmp_gt_i32_e32 vcc, s2, v13
	v_xor_b32_e32 v13, 16, v3
	s_waitcnt lgkmcnt(0)
	v_min_i32_e32 v11, v11, v10
	v_cndmask_b32_e32 v10, v10, v11, vcc
	v_lshlrev_b32_e32 v11, 2, v14
	ds_bpermute_b32 v11, v11, v10
	v_and_or_b32 v14, v13, 63, v2
	v_cmp_gt_i32_e32 vcc, s2, v12
	v_xor_b32_e32 v12, 32, v3
	v_and_or_b32 v2, v12, 63, v2
	s_waitcnt lgkmcnt(0)
	v_min_i32_e32 v11, v11, v10
	v_cndmask_b32_e32 v10, v10, v11, vcc
	v_lshlrev_b32_e32 v11, 2, v14
	ds_bpermute_b32 v11, v11, v10
	v_cmp_gt_i32_e32 vcc, s2, v13
	v_lshlrev_b32_e32 v2, 2, v2
	s_waitcnt lgkmcnt(0)
	v_min_i32_e32 v11, v11, v10
	v_cndmask_b32_e32 v10, v10, v11, vcc
	ds_bpermute_b32 v2, v2, v10
	v_cmp_gt_i32_e32 vcc, s2, v12
	s_waitcnt lgkmcnt(0)
	v_min_i32_e32 v2, v2, v10
	v_cndmask_b32_e32 v10, v10, v2, vcc
	s_andn2_b64 vcc, exec, s[12:13]
	s_cbranch_vccnz .LBB1_23
.LBB1_22:
	v_and_b32_e32 v2, 64, v8
	v_add_u32_e32 v2, 64, v2
	v_xor_b32_e32 v10, 1, v8
	v_cmp_lt_i32_e32 vcc, v10, v2
	v_cndmask_b32_e32 v10, v8, v10, vcc
	v_lshlrev_b32_e32 v10, 2, v10
	ds_bpermute_b32 v10, v10, v5
	v_xor_b32_e32 v11, 2, v8
	v_cmp_lt_i32_e32 vcc, v11, v2
	s_waitcnt lgkmcnt(0)
	v_min_i32_e32 v5, v10, v5
	v_cndmask_b32_e32 v10, v8, v11, vcc
	v_lshlrev_b32_e32 v10, 2, v10
	ds_bpermute_b32 v10, v10, v5
	v_xor_b32_e32 v11, 4, v8
	v_cmp_lt_i32_e32 vcc, v11, v2
	s_waitcnt lgkmcnt(0)
	v_min_i32_e32 v5, v10, v5
	;; [unrolled: 7-line block ×4, first 2 shown]
	v_cndmask_b32_e32 v10, v8, v11, vcc
	v_lshlrev_b32_e32 v10, 2, v10
	ds_bpermute_b32 v10, v10, v5
	v_xor_b32_e32 v11, 32, v8
	v_cmp_lt_i32_e32 vcc, v11, v2
	v_cndmask_b32_e32 v2, v8, v11, vcc
	v_lshlrev_b32_e32 v2, 2, v2
	s_waitcnt lgkmcnt(0)
	v_min_i32_e32 v5, v10, v5
	ds_bpermute_b32 v2, v2, v5
	s_waitcnt lgkmcnt(0)
	v_min_i32_e32 v10, v2, v5
.LBB1_23:
	s_cmpk_lt_i32 s2, 0x41
	s_cbranch_scc1 .LBB1_31
; %bb.24:
	v_lshrrev_b32_e32 v2, 26, v9
	v_add_u32_e32 v5, v3, v2
	v_and_b32_e32 v2, 0xffffffc0, v5
	v_sub_u32_e32 v2, v3, v2
	v_cmp_eq_u32_e32 vcc, 0, v2
	s_and_saveexec_b64 s[12:13], vcc
	s_cbranch_execz .LBB1_26
; %bb.25:
	v_ashrrev_i32_e32 v5, 6, v5
	v_lshlrev_b32_e32 v5, 2, v5
	ds_write_b32 v5, v10 offset:64
.LBB1_26:
	s_or_b64 exec, exec, s[12:13]
	v_add_co_u32_e32 v12, vcc, 63, v3
	v_addc_co_u32_e32 v13, vcc, 0, v9, vcc
	s_mov_b64 s[12:13], 0x7f
	v_cmp_gt_u64_e32 vcc, s[12:13], v[12:13]
	s_waitcnt lgkmcnt(0)
	s_barrier
	s_and_saveexec_b64 s[12:13], vcc
	s_cbranch_execz .LBB1_30
; %bb.27:
	v_ashrrev_i32_e32 v3, 31, v2
	v_lshlrev_b64 v[10:11], 6, v[2:3]
	v_cmp_gt_i64_e32 vcc, s[2:3], v[10:11]
	v_mov_b32_e32 v3, s9
	s_and_saveexec_b64 s[2:3], vcc
	s_cbranch_execz .LBB1_29
; %bb.28:
	v_lshlrev_b32_e32 v2, 2, v2
	ds_read_b32 v3, v2 offset:64
.LBB1_29:
	s_or_b64 exec, exec, s[2:3]
	v_and_b32_e32 v2, 64, v8
	v_add_u32_e32 v2, 64, v2
	v_xor_b32_e32 v5, 1, v8
	v_cmp_lt_i32_e32 vcc, v5, v2
	v_cndmask_b32_e32 v5, v8, v5, vcc
	v_lshlrev_b32_e32 v5, 2, v5
	s_waitcnt lgkmcnt(0)
	ds_bpermute_b32 v5, v5, v3
	v_xor_b32_e32 v9, 2, v8
	v_cmp_lt_i32_e32 vcc, v9, v2
	s_waitcnt lgkmcnt(0)
	v_min_i32_e32 v3, v5, v3
	v_cndmask_b32_e32 v5, v8, v9, vcc
	v_lshlrev_b32_e32 v5, 2, v5
	ds_bpermute_b32 v5, v5, v3
	v_xor_b32_e32 v9, 4, v8
	v_cmp_lt_i32_e32 vcc, v9, v2
	s_waitcnt lgkmcnt(0)
	v_min_i32_e32 v3, v5, v3
	v_cndmask_b32_e32 v5, v8, v9, vcc
	v_lshlrev_b32_e32 v5, 2, v5
	ds_bpermute_b32 v5, v5, v3
	v_xor_b32_e32 v9, 8, v8
	v_cmp_lt_i32_e32 vcc, v9, v2
	v_cndmask_b32_e32 v2, v8, v9, vcc
	v_lshlrev_b32_e32 v2, 2, v2
	s_waitcnt lgkmcnt(0)
	v_min_i32_e32 v3, v5, v3
	ds_bpermute_b32 v2, v2, v3
	s_waitcnt lgkmcnt(0)
	v_min_i32_e32 v10, v2, v3
.LBB1_30:
	s_or_b64 exec, exec, s[12:13]
	s_barrier
.LBB1_31:
	v_sub_u32_e32 v2, 0, v7
	v_cmp_eq_u32_e32 vcc, v6, v2
	v_cmp_ne_u32_e64 s[2:3], s9, v10
	s_and_b64 s[12:13], vcc, s[2:3]
	s_and_saveexec_b64 s[2:3], s[12:13]
	s_cbranch_execz .LBB1_33
; %bb.32:
	s_mul_i32 s7, s11, s8
	s_add_i32 s7, s7, s0
	s_mul_i32 s7, s7, s10
	s_add_i32 s7, s7, s6
	s_ashr_i32 s9, s7, 31
	s_lshr_b32 s9, s9, 27
	s_add_i32 s9, s7, s9
	s_and_b32 s9, s9, 0xfffffe0
	s_sub_i32 s7, s7, s9
	s_lshl_b32 s10, s7, 4
	s_ashr_i32 s11, s10, 31
	s_lshl_b64 s[10:11], s[10:11], 2
	s_add_u32 s10, s14, s10
	s_addc_u32 s11, s15, s11
	v_pk_mov_b32 v[2:3], s[10:11], s[10:11] op_sel:[0,1]
	flat_atomic_smin v[2:3], v10
.LBB1_33:
	s_or_b64 exec, exec, s[2:3]
	s_cmp_lg_u64 s[16:17], 0
	s_cbranch_scc1 .LBB1_4
.LBB1_34:
	s_load_dwordx2 s[10:11], s[4:5], 0x80
	s_add_u32 s2, s4, 0x80
	v_mov_b32_e32 v2, 0
	global_load_dword v3, v2, s[4:5] offset:142
	s_addc_u32 s3, s5, 0
	s_waitcnt lgkmcnt(0)
	s_cmp_lt_u32 s6, s10
	s_cselect_b32 s4, 12, 18
	s_add_u32 s2, s2, s4
	s_addc_u32 s3, s3, 0
	global_load_ushort v5, v2, s[2:3]
	v_bfe_u32 v2, v0, 10, 10
	v_bfe_u32 v0, v0, 20, 10
	s_mov_b32 s5, 0
	s_waitcnt vmcnt(0)
	v_readfirstlane_b32 s2, v3
	s_lshr_b32 s3, s2, 16
	s_and_b32 s2, s2, 0xffff
	v_readfirstlane_b32 s4, v5
	s_mul_i32 s2, s2, s4
	v_mad_u32_u24 v2, v2, v5, v4
	v_mul_lo_u32 v3, s2, v0
	s_mul_i32 s2, s2, s3
	v_add_u32_e32 v5, v3, v2
	s_ashr_i32 s3, s2, 31
	s_and_b32 s4, s2, 63
	v_mbcnt_lo_u32_b32 v0, -1, 0
	v_ashrrev_i32_e32 v6, 31, v5
	s_cmp_eq_u64 s[4:5], 0
	v_mbcnt_hi_u32_b32 v4, -1, v0
	s_cbranch_scc1 .LBB1_49
; %bb.35:
	v_and_b32_e32 v0, 64, v4
	v_xor_b32_e32 v7, 1, v5
	v_and_or_b32 v8, v7, 63, v0
	v_lshlrev_b32_e32 v8, 2, v8
	ds_bpermute_b32 v8, v8, v1
	v_xor_b32_e32 v9, 2, v5
	v_cmp_gt_i32_e32 vcc, s2, v7
	v_and_or_b32 v10, v9, 63, v0
	s_waitcnt lgkmcnt(0)
	v_cndmask_b32_e32 v7, 0, v8, vcc
	v_add_u32_e32 v7, v7, v1
	v_lshlrev_b32_e32 v8, 2, v10
	ds_bpermute_b32 v8, v8, v7
	v_xor_b32_e32 v10, 4, v5
	v_cmp_gt_i32_e32 vcc, s2, v9
	v_and_or_b32 v11, v10, 63, v0
	v_xor_b32_e32 v9, 8, v5
	s_waitcnt lgkmcnt(0)
	v_cndmask_b32_e32 v8, 0, v8, vcc
	v_add_u32_e32 v7, v8, v7
	v_lshlrev_b32_e32 v8, 2, v11
	ds_bpermute_b32 v8, v8, v7
	v_cmp_gt_i32_e32 vcc, s2, v10
	v_and_or_b32 v11, v9, 63, v0
	v_xor_b32_e32 v10, 16, v5
	s_waitcnt lgkmcnt(0)
	v_cndmask_b32_e32 v8, 0, v8, vcc
	v_add_u32_e32 v7, v8, v7
	v_lshlrev_b32_e32 v8, 2, v11
	ds_bpermute_b32 v8, v8, v7
	v_cmp_gt_i32_e32 vcc, s2, v9
	v_and_or_b32 v11, v10, 63, v0
	v_xor_b32_e32 v9, 32, v5
	v_and_or_b32 v0, v9, 63, v0
	s_waitcnt lgkmcnt(0)
	v_cndmask_b32_e32 v8, 0, v8, vcc
	v_add_u32_e32 v7, v8, v7
	v_lshlrev_b32_e32 v8, 2, v11
	ds_bpermute_b32 v8, v8, v7
	v_cmp_gt_i32_e32 vcc, s2, v10
	v_lshlrev_b32_e32 v0, 2, v0
	s_waitcnt lgkmcnt(0)
	v_cndmask_b32_e32 v8, 0, v8, vcc
	v_add_u32_e32 v7, v8, v7
	ds_bpermute_b32 v0, v0, v7
	v_cmp_gt_i32_e32 vcc, s2, v9
	s_waitcnt lgkmcnt(0)
	v_cndmask_b32_e32 v0, 0, v0, vcc
	v_add_u32_e32 v7, v0, v7
	s_cbranch_execnz .LBB1_37
.LBB1_36:
	v_and_b32_e32 v0, 64, v4
	v_add_u32_e32 v0, 64, v0
	v_xor_b32_e32 v7, 1, v4
	v_cmp_lt_i32_e32 vcc, v7, v0
	v_cndmask_b32_e32 v7, v4, v7, vcc
	v_lshlrev_b32_e32 v7, 2, v7
	ds_bpermute_b32 v7, v7, v1
	v_xor_b32_e32 v8, 2, v4
	v_cmp_lt_i32_e32 vcc, v8, v0
	s_waitcnt lgkmcnt(0)
	v_add_u32_e32 v1, v7, v1
	v_cndmask_b32_e32 v7, v4, v8, vcc
	v_lshlrev_b32_e32 v7, 2, v7
	ds_bpermute_b32 v7, v7, v1
	v_xor_b32_e32 v8, 4, v4
	v_cmp_lt_i32_e32 vcc, v8, v0
	s_waitcnt lgkmcnt(0)
	v_add_u32_e32 v1, v7, v1
	;; [unrolled: 7-line block ×4, first 2 shown]
	v_cndmask_b32_e32 v7, v4, v8, vcc
	v_lshlrev_b32_e32 v7, 2, v7
	ds_bpermute_b32 v7, v7, v1
	v_xor_b32_e32 v8, 32, v4
	v_cmp_lt_i32_e32 vcc, v8, v0
	v_cndmask_b32_e32 v0, v4, v8, vcc
	v_lshlrev_b32_e32 v0, 2, v0
	s_waitcnt lgkmcnt(0)
	v_add_u32_e32 v1, v7, v1
	ds_bpermute_b32 v0, v0, v1
	s_waitcnt lgkmcnt(0)
	v_add_u32_e32 v7, v0, v1
.LBB1_37:
	s_cmpk_lt_i32 s2, 0x41
	s_cbranch_scc1 .LBB1_45
; %bb.38:
	v_lshrrev_b32_e32 v0, 26, v6
	v_add_u32_e32 v1, v5, v0
	v_and_b32_e32 v0, 0xffffffc0, v1
	v_sub_u32_e32 v0, v5, v0
	v_cmp_eq_u32_e32 vcc, 0, v0
	s_and_saveexec_b64 s[4:5], vcc
	s_cbranch_execz .LBB1_40
; %bb.39:
	v_ashrrev_i32_e32 v1, 6, v1
	v_lshlrev_b32_e32 v1, 2, v1
	ds_write_b32 v1, v7 offset:128
.LBB1_40:
	s_or_b64 exec, exec, s[4:5]
	v_add_co_u32_e32 v8, vcc, 63, v5
	v_addc_co_u32_e32 v9, vcc, 0, v6, vcc
	s_mov_b64 s[4:5], 0x7f
	v_cmp_gt_u64_e32 vcc, s[4:5], v[8:9]
	s_waitcnt lgkmcnt(0)
	s_barrier
	s_and_saveexec_b64 s[4:5], vcc
	s_cbranch_execz .LBB1_44
; %bb.41:
	v_ashrrev_i32_e32 v1, 31, v0
	v_lshlrev_b64 v[6:7], 6, v[0:1]
	v_cmp_gt_i64_e32 vcc, s[2:3], v[6:7]
	v_mov_b32_e32 v1, s1
	s_and_saveexec_b64 s[2:3], vcc
	s_cbranch_execz .LBB1_43
; %bb.42:
	v_lshlrev_b32_e32 v0, 2, v0
	ds_read_b32 v1, v0 offset:128
.LBB1_43:
	s_or_b64 exec, exec, s[2:3]
	v_and_b32_e32 v0, 64, v4
	v_add_u32_e32 v0, 64, v0
	v_xor_b32_e32 v5, 1, v4
	v_cmp_lt_i32_e32 vcc, v5, v0
	v_cndmask_b32_e32 v5, v4, v5, vcc
	v_lshlrev_b32_e32 v5, 2, v5
	s_waitcnt lgkmcnt(0)
	ds_bpermute_b32 v5, v5, v1
	v_xor_b32_e32 v6, 2, v4
	v_cmp_lt_i32_e32 vcc, v6, v0
	s_waitcnt lgkmcnt(0)
	v_add_u32_e32 v1, v5, v1
	v_cndmask_b32_e32 v5, v4, v6, vcc
	v_lshlrev_b32_e32 v5, 2, v5
	ds_bpermute_b32 v5, v5, v1
	v_xor_b32_e32 v6, 4, v4
	v_cmp_lt_i32_e32 vcc, v6, v0
	s_waitcnt lgkmcnt(0)
	v_add_u32_e32 v1, v5, v1
	v_cndmask_b32_e32 v5, v4, v6, vcc
	v_lshlrev_b32_e32 v5, 2, v5
	ds_bpermute_b32 v5, v5, v1
	v_xor_b32_e32 v6, 8, v4
	v_cmp_lt_i32_e32 vcc, v6, v0
	v_cndmask_b32_e32 v0, v4, v6, vcc
	v_lshlrev_b32_e32 v0, 2, v0
	s_waitcnt lgkmcnt(0)
	v_add_u32_e32 v1, v5, v1
	ds_bpermute_b32 v0, v0, v1
	s_waitcnt lgkmcnt(0)
	v_add_u32_e32 v7, v0, v1
.LBB1_44:
	s_or_b64 exec, exec, s[4:5]
	s_barrier
.LBB1_45:
	v_sub_u32_e32 v0, 0, v3
	v_cmp_eq_u32_e32 vcc, v2, v0
	v_cmp_ne_u32_e64 s[2:3], s1, v7
	s_and_b64 s[2:3], vcc, s[2:3]
	s_and_saveexec_b64 s[4:5], s[2:3]
	s_cbranch_execz .LBB1_4
; %bb.46:
	s_mul_i32 s1, s11, s8
	s_add_i32 s0, s1, s0
	s_mul_i32 s0, s0, s10
	s_add_i32 s0, s0, s6
	s_ashr_i32 s1, s0, 31
	s_lshr_b32 s1, s1, 27
	s_add_i32 s1, s0, s1
	s_and_b32 s1, s1, 0xfffffe0
	s_sub_i32 s0, s0, s1
	s_lshl_b32 s0, s0, 4
	s_ashr_i32 s1, s0, 31
	s_lshl_b64 s[0:1], s[0:1], 2
	s_add_u32 s0, s18, s0
	s_addc_u32 s1, s19, s1
	v_pk_mov_b32 v[0:1], s[0:1], s[0:1] op_sel:[0,1]
	flat_atomic_add v[0:1], v7
	s_endpgm
.LBB1_47:
                                        ; implicit-def: $vgpr11
	s_branch .LBB1_8
.LBB1_48:
                                        ; implicit-def: $vgpr10
	s_branch .LBB1_22
.LBB1_49:
                                        ; implicit-def: $vgpr7
	s_branch .LBB1_36
	.section	.rodata,"a",@progbits
	.p2align	6, 0x0
	.amdhsa_kernel _ZN4RAJA6policy3hip4impl18forallp_hip_kernelINS1_8hip_execINS_17iteration_mapping6DirectENS_3hip11IndexGlobalILNS_9named_dimE0ELi256ELi0EEENS7_40AvoidDeviceMaxThreadOccupancyConcretizerINS7_34FractionOffsetOccupancyConcretizerINS_8FractionImLm1ELm1EEELln1EEEEELb1EEENS_9Iterators16numeric_iteratorIllPlEEZN8rajaperf5basic11REDUCE3_INT17runHipVariantRAJAILm256ENSM_13gpu_algorithm19block_atomic_helperENSM_11gpu_mapping20global_direct_helperEEEvNSM_9VariantIDEEUllE_lNS_4expt15ForallParamPackIJEEES6_SA_TnNSt9enable_ifIXaasr3std10is_base_ofINS5_10DirectBaseET4_EE5valuegtsrT5_10block_sizeLi0EEmE4typeELm256EEEvT1_T0_T2_T3_
		.amdhsa_group_segment_fixed_size 192
		.amdhsa_private_segment_fixed_size 0
		.amdhsa_kernarg_size 384
		.amdhsa_user_sgpr_count 6
		.amdhsa_user_sgpr_private_segment_buffer 1
		.amdhsa_user_sgpr_dispatch_ptr 0
		.amdhsa_user_sgpr_queue_ptr 0
		.amdhsa_user_sgpr_kernarg_segment_ptr 1
		.amdhsa_user_sgpr_dispatch_id 0
		.amdhsa_user_sgpr_flat_scratch_init 0
		.amdhsa_user_sgpr_kernarg_preload_length 0
		.amdhsa_user_sgpr_kernarg_preload_offset 0
		.amdhsa_user_sgpr_private_segment_size 0
		.amdhsa_uses_dynamic_stack 0
		.amdhsa_system_sgpr_private_segment_wavefront_offset 0
		.amdhsa_system_sgpr_workgroup_id_x 1
		.amdhsa_system_sgpr_workgroup_id_y 1
		.amdhsa_system_sgpr_workgroup_id_z 1
		.amdhsa_system_sgpr_workgroup_info 0
		.amdhsa_system_vgpr_workitem_id 2
		.amdhsa_next_free_vgpr 16
		.amdhsa_next_free_sgpr 22
		.amdhsa_accum_offset 16
		.amdhsa_reserve_vcc 1
		.amdhsa_reserve_flat_scratch 0
		.amdhsa_float_round_mode_32 0
		.amdhsa_float_round_mode_16_64 0
		.amdhsa_float_denorm_mode_32 3
		.amdhsa_float_denorm_mode_16_64 3
		.amdhsa_dx10_clamp 1
		.amdhsa_ieee_mode 1
		.amdhsa_fp16_overflow 0
		.amdhsa_tg_split 0
		.amdhsa_exception_fp_ieee_invalid_op 0
		.amdhsa_exception_fp_denorm_src 0
		.amdhsa_exception_fp_ieee_div_zero 0
		.amdhsa_exception_fp_ieee_overflow 0
		.amdhsa_exception_fp_ieee_underflow 0
		.amdhsa_exception_fp_ieee_inexact 0
		.amdhsa_exception_int_div_zero 0
	.end_amdhsa_kernel
	.section	.text._ZN4RAJA6policy3hip4impl18forallp_hip_kernelINS1_8hip_execINS_17iteration_mapping6DirectENS_3hip11IndexGlobalILNS_9named_dimE0ELi256ELi0EEENS7_40AvoidDeviceMaxThreadOccupancyConcretizerINS7_34FractionOffsetOccupancyConcretizerINS_8FractionImLm1ELm1EEELln1EEEEELb1EEENS_9Iterators16numeric_iteratorIllPlEEZN8rajaperf5basic11REDUCE3_INT17runHipVariantRAJAILm256ENSM_13gpu_algorithm19block_atomic_helperENSM_11gpu_mapping20global_direct_helperEEEvNSM_9VariantIDEEUllE_lNS_4expt15ForallParamPackIJEEES6_SA_TnNSt9enable_ifIXaasr3std10is_base_ofINS5_10DirectBaseET4_EE5valuegtsrT5_10block_sizeLi0EEmE4typeELm256EEEvT1_T0_T2_T3_,"axG",@progbits,_ZN4RAJA6policy3hip4impl18forallp_hip_kernelINS1_8hip_execINS_17iteration_mapping6DirectENS_3hip11IndexGlobalILNS_9named_dimE0ELi256ELi0EEENS7_40AvoidDeviceMaxThreadOccupancyConcretizerINS7_34FractionOffsetOccupancyConcretizerINS_8FractionImLm1ELm1EEELln1EEEEELb1EEENS_9Iterators16numeric_iteratorIllPlEEZN8rajaperf5basic11REDUCE3_INT17runHipVariantRAJAILm256ENSM_13gpu_algorithm19block_atomic_helperENSM_11gpu_mapping20global_direct_helperEEEvNSM_9VariantIDEEUllE_lNS_4expt15ForallParamPackIJEEES6_SA_TnNSt9enable_ifIXaasr3std10is_base_ofINS5_10DirectBaseET4_EE5valuegtsrT5_10block_sizeLi0EEmE4typeELm256EEEvT1_T0_T2_T3_,comdat
.Lfunc_end1:
	.size	_ZN4RAJA6policy3hip4impl18forallp_hip_kernelINS1_8hip_execINS_17iteration_mapping6DirectENS_3hip11IndexGlobalILNS_9named_dimE0ELi256ELi0EEENS7_40AvoidDeviceMaxThreadOccupancyConcretizerINS7_34FractionOffsetOccupancyConcretizerINS_8FractionImLm1ELm1EEELln1EEEEELb1EEENS_9Iterators16numeric_iteratorIllPlEEZN8rajaperf5basic11REDUCE3_INT17runHipVariantRAJAILm256ENSM_13gpu_algorithm19block_atomic_helperENSM_11gpu_mapping20global_direct_helperEEEvNSM_9VariantIDEEUllE_lNS_4expt15ForallParamPackIJEEES6_SA_TnNSt9enable_ifIXaasr3std10is_base_ofINS5_10DirectBaseET4_EE5valuegtsrT5_10block_sizeLi0EEmE4typeELm256EEEvT1_T0_T2_T3_, .Lfunc_end1-_ZN4RAJA6policy3hip4impl18forallp_hip_kernelINS1_8hip_execINS_17iteration_mapping6DirectENS_3hip11IndexGlobalILNS_9named_dimE0ELi256ELi0EEENS7_40AvoidDeviceMaxThreadOccupancyConcretizerINS7_34FractionOffsetOccupancyConcretizerINS_8FractionImLm1ELm1EEELln1EEEEELb1EEENS_9Iterators16numeric_iteratorIllPlEEZN8rajaperf5basic11REDUCE3_INT17runHipVariantRAJAILm256ENSM_13gpu_algorithm19block_atomic_helperENSM_11gpu_mapping20global_direct_helperEEEvNSM_9VariantIDEEUllE_lNS_4expt15ForallParamPackIJEEES6_SA_TnNSt9enable_ifIXaasr3std10is_base_ofINS5_10DirectBaseET4_EE5valuegtsrT5_10block_sizeLi0EEmE4typeELm256EEEvT1_T0_T2_T3_
                                        ; -- End function
	.section	.AMDGPU.csdata,"",@progbits
; Kernel info:
; codeLenInByte = 3324
; NumSgprs: 26
; NumVgprs: 16
; NumAgprs: 0
; TotalNumVgprs: 16
; ScratchSize: 0
; MemoryBound: 0
; FloatMode: 240
; IeeeMode: 1
; LDSByteSize: 192 bytes/workgroup (compile time only)
; SGPRBlocks: 3
; VGPRBlocks: 1
; NumSGPRsForWavesPerEU: 26
; NumVGPRsForWavesPerEU: 16
; AccumOffset: 16
; Occupancy: 8
; WaveLimiterHint : 1
; COMPUTE_PGM_RSRC2:SCRATCH_EN: 0
; COMPUTE_PGM_RSRC2:USER_SGPR: 6
; COMPUTE_PGM_RSRC2:TRAP_HANDLER: 0
; COMPUTE_PGM_RSRC2:TGID_X_EN: 1
; COMPUTE_PGM_RSRC2:TGID_Y_EN: 1
; COMPUTE_PGM_RSRC2:TGID_Z_EN: 1
; COMPUTE_PGM_RSRC2:TIDIG_COMP_CNT: 2
; COMPUTE_PGM_RSRC3_GFX90A:ACCUM_OFFSET: 3
; COMPUTE_PGM_RSRC3_GFX90A:TG_SPLIT: 0
	.section	.text._ZN4RAJA6policy3hip4impl18forallp_hip_kernelINS1_8hip_execINS_17iteration_mapping6DirectENS_3hip11IndexGlobalILNS_9named_dimE0ELi256ELi0EEENS7_40AvoidDeviceMaxThreadOccupancyConcretizerINS7_34FractionOffsetOccupancyConcretizerINS_8FractionImLm1ELm1EEELln1EEEEELb1EEENS_9Iterators16numeric_iteratorIllPlEEZN8rajaperf5basic11REDUCE3_INT17runHipVariantRAJAILm256ENSM_13gpu_algorithm19block_device_helperENSM_11gpu_mapping20global_direct_helperEEEvNSM_9VariantIDEEUllE_lNS_4expt15ForallParamPackIJEEES6_SA_TnNSt9enable_ifIXaasr3std10is_base_ofINS5_10DirectBaseET4_EE5valuegtsrT5_10block_sizeLi0EEmE4typeELm256EEEvT1_T0_T2_T3_,"axG",@progbits,_ZN4RAJA6policy3hip4impl18forallp_hip_kernelINS1_8hip_execINS_17iteration_mapping6DirectENS_3hip11IndexGlobalILNS_9named_dimE0ELi256ELi0EEENS7_40AvoidDeviceMaxThreadOccupancyConcretizerINS7_34FractionOffsetOccupancyConcretizerINS_8FractionImLm1ELm1EEELln1EEEEELb1EEENS_9Iterators16numeric_iteratorIllPlEEZN8rajaperf5basic11REDUCE3_INT17runHipVariantRAJAILm256ENSM_13gpu_algorithm19block_device_helperENSM_11gpu_mapping20global_direct_helperEEEvNSM_9VariantIDEEUllE_lNS_4expt15ForallParamPackIJEEES6_SA_TnNSt9enable_ifIXaasr3std10is_base_ofINS5_10DirectBaseET4_EE5valuegtsrT5_10block_sizeLi0EEmE4typeELm256EEEvT1_T0_T2_T3_,comdat
	.protected	_ZN4RAJA6policy3hip4impl18forallp_hip_kernelINS1_8hip_execINS_17iteration_mapping6DirectENS_3hip11IndexGlobalILNS_9named_dimE0ELi256ELi0EEENS7_40AvoidDeviceMaxThreadOccupancyConcretizerINS7_34FractionOffsetOccupancyConcretizerINS_8FractionImLm1ELm1EEELln1EEEEELb1EEENS_9Iterators16numeric_iteratorIllPlEEZN8rajaperf5basic11REDUCE3_INT17runHipVariantRAJAILm256ENSM_13gpu_algorithm19block_device_helperENSM_11gpu_mapping20global_direct_helperEEEvNSM_9VariantIDEEUllE_lNS_4expt15ForallParamPackIJEEES6_SA_TnNSt9enable_ifIXaasr3std10is_base_ofINS5_10DirectBaseET4_EE5valuegtsrT5_10block_sizeLi0EEmE4typeELm256EEEvT1_T0_T2_T3_ ; -- Begin function _ZN4RAJA6policy3hip4impl18forallp_hip_kernelINS1_8hip_execINS_17iteration_mapping6DirectENS_3hip11IndexGlobalILNS_9named_dimE0ELi256ELi0EEENS7_40AvoidDeviceMaxThreadOccupancyConcretizerINS7_34FractionOffsetOccupancyConcretizerINS_8FractionImLm1ELm1EEELln1EEEEELb1EEENS_9Iterators16numeric_iteratorIllPlEEZN8rajaperf5basic11REDUCE3_INT17runHipVariantRAJAILm256ENSM_13gpu_algorithm19block_device_helperENSM_11gpu_mapping20global_direct_helperEEEvNSM_9VariantIDEEUllE_lNS_4expt15ForallParamPackIJEEES6_SA_TnNSt9enable_ifIXaasr3std10is_base_ofINS5_10DirectBaseET4_EE5valuegtsrT5_10block_sizeLi0EEmE4typeELm256EEEvT1_T0_T2_T3_
	.globl	_ZN4RAJA6policy3hip4impl18forallp_hip_kernelINS1_8hip_execINS_17iteration_mapping6DirectENS_3hip11IndexGlobalILNS_9named_dimE0ELi256ELi0EEENS7_40AvoidDeviceMaxThreadOccupancyConcretizerINS7_34FractionOffsetOccupancyConcretizerINS_8FractionImLm1ELm1EEELln1EEEEELb1EEENS_9Iterators16numeric_iteratorIllPlEEZN8rajaperf5basic11REDUCE3_INT17runHipVariantRAJAILm256ENSM_13gpu_algorithm19block_device_helperENSM_11gpu_mapping20global_direct_helperEEEvNSM_9VariantIDEEUllE_lNS_4expt15ForallParamPackIJEEES6_SA_TnNSt9enable_ifIXaasr3std10is_base_ofINS5_10DirectBaseET4_EE5valuegtsrT5_10block_sizeLi0EEmE4typeELm256EEEvT1_T0_T2_T3_
	.p2align	8
	.type	_ZN4RAJA6policy3hip4impl18forallp_hip_kernelINS1_8hip_execINS_17iteration_mapping6DirectENS_3hip11IndexGlobalILNS_9named_dimE0ELi256ELi0EEENS7_40AvoidDeviceMaxThreadOccupancyConcretizerINS7_34FractionOffsetOccupancyConcretizerINS_8FractionImLm1ELm1EEELln1EEEEELb1EEENS_9Iterators16numeric_iteratorIllPlEEZN8rajaperf5basic11REDUCE3_INT17runHipVariantRAJAILm256ENSM_13gpu_algorithm19block_device_helperENSM_11gpu_mapping20global_direct_helperEEEvNSM_9VariantIDEEUllE_lNS_4expt15ForallParamPackIJEEES6_SA_TnNSt9enable_ifIXaasr3std10is_base_ofINS5_10DirectBaseET4_EE5valuegtsrT5_10block_sizeLi0EEmE4typeELm256EEEvT1_T0_T2_T3_,@function
_ZN4RAJA6policy3hip4impl18forallp_hip_kernelINS1_8hip_execINS_17iteration_mapping6DirectENS_3hip11IndexGlobalILNS_9named_dimE0ELi256ELi0EEENS7_40AvoidDeviceMaxThreadOccupancyConcretizerINS7_34FractionOffsetOccupancyConcretizerINS_8FractionImLm1ELm1EEELln1EEEEELb1EEENS_9Iterators16numeric_iteratorIllPlEEZN8rajaperf5basic11REDUCE3_INT17runHipVariantRAJAILm256ENSM_13gpu_algorithm19block_device_helperENSM_11gpu_mapping20global_direct_helperEEEvNSM_9VariantIDEEUllE_lNS_4expt15ForallParamPackIJEEES6_SA_TnNSt9enable_ifIXaasr3std10is_base_ofINS5_10DirectBaseET4_EE5valuegtsrT5_10block_sizeLi0EEmE4typeELm256EEEvT1_T0_T2_T3_: ; @_ZN4RAJA6policy3hip4impl18forallp_hip_kernelINS1_8hip_execINS_17iteration_mapping6DirectENS_3hip11IndexGlobalILNS_9named_dimE0ELi256ELi0EEENS7_40AvoidDeviceMaxThreadOccupancyConcretizerINS7_34FractionOffsetOccupancyConcretizerINS_8FractionImLm1ELm1EEELln1EEEEELb1EEENS_9Iterators16numeric_iteratorIllPlEEZN8rajaperf5basic11REDUCE3_INT17runHipVariantRAJAILm256ENSM_13gpu_algorithm19block_device_helperENSM_11gpu_mapping20global_direct_helperEEEvNSM_9VariantIDEEUllE_lNS_4expt15ForallParamPackIJEEES6_SA_TnNSt9enable_ifIXaasr3std10is_base_ofINS5_10DirectBaseET4_EE5valuegtsrT5_10block_sizeLi0EEmE4typeELm256EEEvT1_T0_T2_T3_
; %bb.0:
	s_load_dwordx4 s[12:15], s[4:5], 0x98
	s_load_dword s3, s[4:5], 0x14
	s_load_dword s9, s[4:5], 0x4c
	s_load_dwordx4 s[16:19], s[4:5], 0x68
	s_load_dword s30, s[4:5], 0x7c
	s_mov_b32 s2, s7
	s_mov_b32 s7, 0
	v_and_b32_e32 v1, 0x3ff, v0
	s_lshl_b64 s[0:1], s[6:7], 8
	v_or_b32_e32 v2, s0, v1
	v_mov_b32_e32 v3, s1
	s_waitcnt lgkmcnt(0)
	v_cmp_gt_i64_e32 vcc, s[14:15], v[2:3]
	v_mov_b32_e32 v6, s3
	v_mov_b32_e32 v7, s9
	;; [unrolled: 1-line block ×3, first 2 shown]
	s_and_saveexec_b64 s[0:1], vcc
	s_cbranch_execnz .LBB2_5
; %bb.1:
	s_or_b64 exec, exec, s[0:1]
	s_load_dwordx4 s[12:15], s[4:5], 0x38
	s_cmp_lg_u64 s[16:17], 0
	s_cbranch_scc0 .LBB2_6
.LBB2_2:
	s_load_dwordx4 s[16:19], s[4:5], 0x0
	s_waitcnt lgkmcnt(0)
	s_cmp_lg_u64 s[12:13], 0
	s_cbranch_scc0 .LBB2_43
.LBB2_3:
	s_waitcnt lgkmcnt(0)
	s_cmp_lg_u64 s[16:17], 0
	s_cbranch_scc0 .LBB2_80
.LBB2_4:
	s_endpgm
.LBB2_5:
	s_load_dwordx2 s[10:11], s[4:5], 0x30
	s_lshl_b64 s[12:13], s[12:13], 2
	v_lshlrev_b64 v[2:3], 2, v[2:3]
	s_waitcnt lgkmcnt(0)
	s_add_u32 s7, s12, s10
	s_addc_u32 s10, s13, s11
	v_mov_b32_e32 v4, s10
	v_add_co_u32_e32 v2, vcc, s7, v2
	v_addc_co_u32_e32 v3, vcc, v4, v3, vcc
	global_load_dword v2, v[2:3], off
	s_waitcnt vmcnt(0)
	v_add_u32_e32 v6, s3, v2
	v_min_i32_e32 v7, s9, v2
	v_max_i32_e32 v8, s30, v2
	s_or_b64 exec, exec, s[0:1]
	s_load_dwordx4 s[12:15], s[4:5], 0x38
	s_cmp_lg_u64 s[16:17], 0
	s_cbranch_scc1 .LBB2_2
.LBB2_6:
	s_load_dwordx2 s[0:1], s[4:5], 0xb0
	s_add_u32 s7, s4, 0xb0
	v_mov_b32_e32 v2, 0
	global_load_dword v3, v2, s[4:5] offset:190
	s_addc_u32 s11, s5, 0
	s_waitcnt lgkmcnt(0)
	s_cmp_lt_u32 s6, s0
	s_cselect_b32 s10, 12, 18
	s_add_u32 s10, s7, s10
	s_addc_u32 s11, s11, 0
	global_load_ushort v2, v2, s[10:11]
	v_bfe_u32 v4, v0, 10, 10
	v_bfe_u32 v5, v0, 20, 10
	s_mov_b32 s17, 0
	s_waitcnt vmcnt(1)
	v_readfirstlane_b32 s7, v3
	s_lshr_b32 s10, s7, 16
	s_and_b32 s7, s7, 0xffff
	s_waitcnt vmcnt(0)
	v_readfirstlane_b32 s11, v2
	s_mul_i32 s7, s7, s11
	s_mul_i32 s10, s7, s10
	v_mul_u32_u24_e32 v3, v4, v2
	v_mul_lo_u32 v2, s7, v5
	s_ashr_i32 s11, s10, 31
	s_and_b32 s16, s10, 63
	v_add3_u32 v10, v3, v1, v2
	s_cmp_lg_u64 s[16:17], 0
	v_mbcnt_lo_u32_b32 v2, -1, 0
	s_cselect_b64 s[24:25], -1, 0
	s_cmp_eq_u64 s[16:17], 0
	v_mbcnt_hi_u32_b32 v9, -1, v2
	s_cbranch_scc1 .LBB2_116
; %bb.7:
	v_and_b32_e32 v2, 64, v9
	v_xor_b32_e32 v3, 1, v10
	v_and_or_b32 v4, v3, 63, v2
	v_lshlrev_b32_e32 v4, 2, v4
	ds_bpermute_b32 v4, v4, v8
	v_xor_b32_e32 v5, 2, v10
	v_and_or_b32 v11, v5, 63, v2
	v_cmp_gt_i32_e32 vcc, s10, v3
	s_waitcnt lgkmcnt(0)
	v_max_i32_e32 v4, v8, v4
	v_cndmask_b32_e32 v3, v8, v4, vcc
	v_lshlrev_b32_e32 v4, 2, v11
	ds_bpermute_b32 v4, v4, v3
	v_xor_b32_e32 v11, 4, v10
	v_and_or_b32 v12, v11, 63, v2
	v_cmp_gt_i32_e32 vcc, s10, v5
	v_xor_b32_e32 v5, 8, v10
	s_waitcnt lgkmcnt(0)
	v_max_i32_e32 v4, v3, v4
	v_cndmask_b32_e32 v3, v3, v4, vcc
	v_lshlrev_b32_e32 v4, 2, v12
	ds_bpermute_b32 v4, v4, v3
	v_and_or_b32 v12, v5, 63, v2
	v_cmp_gt_i32_e32 vcc, s10, v11
	v_xor_b32_e32 v11, 16, v10
	s_waitcnt lgkmcnt(0)
	v_max_i32_e32 v4, v3, v4
	v_cndmask_b32_e32 v3, v3, v4, vcc
	v_lshlrev_b32_e32 v4, 2, v12
	ds_bpermute_b32 v4, v4, v3
	v_and_or_b32 v12, v11, 63, v2
	v_cmp_gt_i32_e32 vcc, s10, v5
	v_xor_b32_e32 v5, 32, v10
	v_and_or_b32 v2, v5, 63, v2
	s_waitcnt lgkmcnt(0)
	v_max_i32_e32 v4, v3, v4
	v_cndmask_b32_e32 v3, v3, v4, vcc
	v_lshlrev_b32_e32 v4, 2, v12
	ds_bpermute_b32 v4, v4, v3
	v_cmp_gt_i32_e32 vcc, s10, v11
	v_lshlrev_b32_e32 v2, 2, v2
	s_waitcnt lgkmcnt(0)
	v_max_i32_e32 v4, v3, v4
	v_cndmask_b32_e32 v3, v3, v4, vcc
	ds_bpermute_b32 v2, v2, v3
	v_cmp_gt_i32_e32 vcc, s10, v5
	s_waitcnt lgkmcnt(0)
	v_max_i32_e32 v2, v3, v2
	v_cndmask_b32_e32 v11, v3, v2, vcc
	s_cbranch_execnz .LBB2_9
.LBB2_8:
	v_and_b32_e32 v2, 64, v9
	v_add_u32_e32 v2, 64, v2
	v_xor_b32_e32 v3, 1, v9
	v_cmp_lt_i32_e32 vcc, v3, v2
	v_cndmask_b32_e32 v3, v9, v3, vcc
	v_lshlrev_b32_e32 v3, 2, v3
	ds_bpermute_b32 v3, v3, v8
	v_xor_b32_e32 v4, 2, v9
	v_cmp_lt_i32_e32 vcc, v4, v2
	v_cndmask_b32_e32 v4, v9, v4, vcc
	v_lshlrev_b32_e32 v4, 2, v4
	s_waitcnt lgkmcnt(0)
	v_max_i32_e32 v3, v8, v3
	ds_bpermute_b32 v4, v4, v3
	v_xor_b32_e32 v5, 4, v9
	v_cmp_lt_i32_e32 vcc, v5, v2
	s_waitcnt lgkmcnt(0)
	v_max_i32_e32 v3, v3, v4
	v_cndmask_b32_e32 v4, v9, v5, vcc
	v_lshlrev_b32_e32 v4, 2, v4
	ds_bpermute_b32 v4, v4, v3
	v_xor_b32_e32 v5, 8, v9
	v_cmp_lt_i32_e32 vcc, v5, v2
	s_waitcnt lgkmcnt(0)
	v_max_i32_e32 v3, v3, v4
	v_cndmask_b32_e32 v4, v9, v5, vcc
	v_lshlrev_b32_e32 v4, 2, v4
	;; [unrolled: 7-line block ×3, first 2 shown]
	ds_bpermute_b32 v4, v4, v3
	v_xor_b32_e32 v5, 32, v9
	v_cmp_lt_i32_e32 vcc, v5, v2
	v_cndmask_b32_e32 v2, v9, v5, vcc
	v_lshlrev_b32_e32 v2, 2, v2
	s_waitcnt lgkmcnt(0)
	v_max_i32_e32 v3, v3, v4
	ds_bpermute_b32 v2, v2, v3
	s_waitcnt lgkmcnt(0)
	v_max_i32_e32 v11, v3, v2
.LBB2_9:
	v_ashrrev_i32_e32 v12, 31, v10
	s_load_dword s7, s[4:5], 0xb8
	v_lshrrev_b32_e32 v2, 26, v12
	v_add_u32_e32 v2, v10, v2
	v_ashrrev_i32_e32 v13, 6, v2
	v_and_b32_e32 v2, 0xffffffc0, v2
	v_sub_u32_e32 v2, v10, v2
	s_cmp_gt_i32 s10, 64
	s_cselect_b64 s[26:27], -1, 0
	s_cmpk_lt_i32 s10, 0x41
	v_ashrrev_i32_e32 v3, 31, v2
	s_cbranch_scc1 .LBB2_17
; %bb.10:
	v_cmp_eq_u32_e32 vcc, 0, v2
	s_and_saveexec_b64 s[16:17], vcc
	s_cbranch_execz .LBB2_12
; %bb.11:
	v_lshlrev_b32_e32 v4, 2, v13
	ds_write_b32 v4, v11
.LBB2_12:
	s_or_b64 exec, exec, s[16:17]
	v_add_co_u32_e32 v4, vcc, 63, v10
	v_addc_co_u32_e32 v5, vcc, 0, v12, vcc
	s_mov_b64 s[16:17], 0x7f
	v_cmp_gt_u64_e32 vcc, s[16:17], v[4:5]
	s_waitcnt lgkmcnt(0)
	s_barrier
	s_and_saveexec_b64 s[16:17], vcc
	s_cbranch_execz .LBB2_16
; %bb.13:
	v_lshlrev_b64 v[4:5], 6, v[2:3]
	v_cmp_gt_i64_e32 vcc, s[10:11], v[4:5]
	v_mov_b32_e32 v4, s30
	s_and_saveexec_b64 s[20:21], vcc
	s_cbranch_execz .LBB2_15
; %bb.14:
	v_lshlrev_b32_e32 v4, 2, v2
	ds_read_b32 v4, v4
.LBB2_15:
	s_or_b64 exec, exec, s[20:21]
	v_and_b32_e32 v5, 64, v9
	v_add_u32_e32 v5, 64, v5
	v_xor_b32_e32 v11, 1, v9
	v_cmp_lt_i32_e32 vcc, v11, v5
	v_cndmask_b32_e32 v11, v9, v11, vcc
	v_lshlrev_b32_e32 v11, 2, v11
	s_waitcnt lgkmcnt(0)
	ds_bpermute_b32 v11, v11, v4
	v_xor_b32_e32 v14, 2, v9
	v_cmp_lt_i32_e32 vcc, v14, v5
	s_waitcnt lgkmcnt(0)
	v_max_i32_e32 v4, v4, v11
	v_cndmask_b32_e32 v11, v9, v14, vcc
	v_lshlrev_b32_e32 v11, 2, v11
	ds_bpermute_b32 v11, v11, v4
	v_xor_b32_e32 v14, 4, v9
	v_cmp_lt_i32_e32 vcc, v14, v5
	s_waitcnt lgkmcnt(0)
	v_max_i32_e32 v4, v4, v11
	v_cndmask_b32_e32 v11, v9, v14, vcc
	v_lshlrev_b32_e32 v11, 2, v11
	ds_bpermute_b32 v11, v11, v4
	v_xor_b32_e32 v14, 8, v9
	v_cmp_lt_i32_e32 vcc, v14, v5
	v_cndmask_b32_e32 v5, v9, v14, vcc
	v_lshlrev_b32_e32 v5, 2, v5
	s_waitcnt lgkmcnt(0)
	v_max_i32_e32 v4, v4, v11
	ds_bpermute_b32 v5, v5, v4
	s_waitcnt lgkmcnt(0)
	v_max_i32_e32 v11, v4, v5
.LBB2_16:
	s_or_b64 exec, exec, s[16:17]
	s_barrier
.LBB2_17:
	s_mul_i32 s16, s0, s2
	s_mul_i32 s0, s1, s0
	s_add_i32 s16, s16, s6
	s_mul_i32 s1, s0, s8
	s_add_i32 s1, s16, s1
	s_waitcnt lgkmcnt(0)
	s_mul_i32 s17, s7, s0
	s_ashr_i32 s0, s1, 31
	s_lshr_b32 s0, s0, 27
	s_add_i32 s31, s1, s0
	s_and_b32 s0, s31, 0xffffffe0
	s_sub_i32 s16, s1, s0
	s_ashr_i32 s0, s17, 31
	s_lshr_b32 s0, s0, 27
	s_add_i32 s0, s17, s0
	s_ashr_i32 s7, s0, 5
	s_andn2_b32 s0, s0, 31
	s_sub_i32 s0, s17, s0
	s_load_dwordx4 s[20:23], s[4:5], 0x80
	s_cmp_lt_i32 s16, s0
	s_cselect_b64 s[0:1], -1, 0
	s_cmp_lg_u64 s[0:1], 0
	s_addc_u32 s7, s7, 0
	s_cmp_gt_u32 s7, 1
	v_cmp_eq_u32_e64 s[0:1], 0, v10
	s_cbranch_scc0 .LBB2_38
; %bb.18:
	s_add_i32 s17, s17, 31
	s_ashr_i32 s28, s17, 31
	s_lshr_b32 s28, s28, 27
	s_add_i32 s17, s17, s28
	s_ashr_i32 s17, s17, 5
	s_mul_i32 s17, s17, s16
	s_and_saveexec_b64 s[28:29], s[0:1]
	s_cbranch_execz .LBB2_20
; %bb.19:
	s_ashr_i32 s31, s31, 5
	s_add_i32 s36, s17, s31
	s_ashr_i32 s37, s36, 31
	s_lshl_b32 s34, s16, 4
	s_lshl_b64 s[36:37], s[36:37], 2
	s_waitcnt lgkmcnt(0)
	s_add_u32 s36, s22, s36
	s_addc_u32 s37, s23, s37
	s_ashr_i32 s35, s34, 31
	s_lshl_b64 s[34:35], s[34:35], 2
	s_add_u32 s20, s20, s34
	v_pk_mov_b32 v[4:5], s[36:37], s[36:37] op_sel:[0,1]
	s_addc_u32 s21, s21, s35
	s_add_i32 s31, s7, -1
	flat_store_dword v[4:5], v11
	v_mov_b32_e32 v4, 0
	v_mov_b32_e32 v5, s31
	s_waitcnt vmcnt(0) lgkmcnt(0)
	global_atomic_inc v5, v4, v5, s[20:21] glc
	s_waitcnt vmcnt(0)
	v_cmp_eq_u32_e32 vcc, s31, v5
	v_cndmask_b32_e64 v5, 0, 1, vcc
	ds_write_b8 v4, v5 offset:192
.LBB2_20:
	s_or_b64 exec, exec, s[28:29]
	v_mov_b32_e32 v4, 0
	s_waitcnt lgkmcnt(0)
	s_barrier
	ds_read_u8 v4, v4 offset:192
	s_mov_b64 s[20:21], 0
	s_waitcnt lgkmcnt(0)
	v_cmp_eq_u32_e32 vcc, 0, v4
	v_mov_b32_e32 v4, v8
	s_cbranch_vccnz .LBB2_37
; %bb.21:
	v_cmp_gt_u32_e32 vcc, s7, v10
	v_mov_b32_e32 v14, s30
	s_and_saveexec_b64 s[20:21], vcc
	s_cbranch_execz .LBB2_25
; %bb.22:
	s_mov_b64 s[28:29], 0
	v_mov_b32_e32 v14, s30
	v_mov_b32_e32 v5, 0
	;; [unrolled: 1-line block ×4, first 2 shown]
.LBB2_23:                               ; =>This Inner Loop Header: Depth=1
	v_add_u32_e32 v4, s17, v16
	v_lshlrev_b64 v[18:19], 2, v[4:5]
	v_add_co_u32_e32 v18, vcc, s22, v18
	v_addc_co_u32_e32 v19, vcc, v15, v19, vcc
	flat_load_dword v4, v[18:19] glc
	v_add_u32_e32 v16, s10, v16
	v_cmp_le_u32_e32 vcc, s7, v16
	s_or_b64 s[28:29], vcc, s[28:29]
	s_waitcnt vmcnt(0) lgkmcnt(0)
	v_max_i32_e32 v14, v14, v4
	s_andn2_b64 exec, exec, s[28:29]
	s_cbranch_execnz .LBB2_23
; %bb.24:
	s_or_b64 exec, exec, s[28:29]
.LBB2_25:
	s_or_b64 exec, exec, s[20:21]
	s_andn2_b64 vcc, exec, s[24:25]
	s_cbranch_vccnz .LBB2_119
; %bb.26:
	v_and_b32_e32 v4, 64, v9
	v_xor_b32_e32 v5, 1, v10
	v_and_or_b32 v15, v5, 63, v4
	v_lshlrev_b32_e32 v15, 2, v15
	ds_bpermute_b32 v15, v15, v14
	v_xor_b32_e32 v16, 2, v10
	v_and_or_b32 v17, v16, 63, v4
	v_cmp_gt_i32_e32 vcc, s10, v5
	s_waitcnt lgkmcnt(0)
	v_max_i32_e32 v15, v14, v15
	v_cndmask_b32_e32 v5, v14, v15, vcc
	v_lshlrev_b32_e32 v15, 2, v17
	ds_bpermute_b32 v15, v15, v5
	v_xor_b32_e32 v17, 4, v10
	v_and_or_b32 v18, v17, 63, v4
	v_cmp_gt_i32_e32 vcc, s10, v16
	v_xor_b32_e32 v16, 8, v10
	s_waitcnt lgkmcnt(0)
	v_max_i32_e32 v15, v5, v15
	v_cndmask_b32_e32 v5, v5, v15, vcc
	v_lshlrev_b32_e32 v15, 2, v18
	ds_bpermute_b32 v15, v15, v5
	v_and_or_b32 v18, v16, 63, v4
	v_cmp_gt_i32_e32 vcc, s10, v17
	v_xor_b32_e32 v17, 16, v10
	s_waitcnt lgkmcnt(0)
	v_max_i32_e32 v15, v5, v15
	v_cndmask_b32_e32 v5, v5, v15, vcc
	v_lshlrev_b32_e32 v15, 2, v18
	ds_bpermute_b32 v15, v15, v5
	v_and_or_b32 v18, v17, 63, v4
	v_cmp_gt_i32_e32 vcc, s10, v16
	v_xor_b32_e32 v16, 32, v10
	v_and_or_b32 v4, v16, 63, v4
	s_waitcnt lgkmcnt(0)
	v_max_i32_e32 v15, v5, v15
	v_cndmask_b32_e32 v5, v5, v15, vcc
	v_lshlrev_b32_e32 v15, 2, v18
	ds_bpermute_b32 v15, v15, v5
	v_cmp_gt_i32_e32 vcc, s10, v17
	v_lshlrev_b32_e32 v4, 2, v4
	s_waitcnt lgkmcnt(0)
	v_max_i32_e32 v15, v5, v15
	v_cndmask_b32_e32 v5, v5, v15, vcc
	ds_bpermute_b32 v4, v4, v5
	v_cmp_gt_i32_e32 vcc, s10, v16
	s_waitcnt lgkmcnt(0)
	v_max_i32_e32 v4, v5, v4
	v_cndmask_b32_e32 v4, v5, v4, vcc
	s_cbranch_execnz .LBB2_28
.LBB2_27:
	v_and_b32_e32 v4, 64, v9
	v_add_u32_e32 v4, 64, v4
	v_xor_b32_e32 v5, 1, v9
	v_cmp_lt_i32_e32 vcc, v5, v4
	v_cndmask_b32_e32 v5, v9, v5, vcc
	v_lshlrev_b32_e32 v5, 2, v5
	ds_bpermute_b32 v5, v5, v14
	v_xor_b32_e32 v15, 2, v9
	v_cmp_lt_i32_e32 vcc, v15, v4
	s_waitcnt lgkmcnt(0)
	v_max_i32_e32 v5, v14, v5
	v_cndmask_b32_e32 v14, v9, v15, vcc
	v_lshlrev_b32_e32 v14, 2, v14
	ds_bpermute_b32 v14, v14, v5
	v_xor_b32_e32 v15, 4, v9
	v_cmp_lt_i32_e32 vcc, v15, v4
	s_waitcnt lgkmcnt(0)
	v_max_i32_e32 v5, v5, v14
	;; [unrolled: 7-line block ×4, first 2 shown]
	v_cndmask_b32_e32 v14, v9, v15, vcc
	v_lshlrev_b32_e32 v14, 2, v14
	ds_bpermute_b32 v14, v14, v5
	v_xor_b32_e32 v15, 32, v9
	v_cmp_lt_i32_e32 vcc, v15, v4
	v_cndmask_b32_e32 v4, v9, v15, vcc
	v_lshlrev_b32_e32 v4, 2, v4
	s_waitcnt lgkmcnt(0)
	v_max_i32_e32 v5, v5, v14
	ds_bpermute_b32 v4, v4, v5
	s_waitcnt lgkmcnt(0)
	v_max_i32_e32 v4, v5, v4
.LBB2_28:
	s_andn2_b64 vcc, exec, s[26:27]
	s_cbranch_vccnz .LBB2_36
; %bb.29:
	v_cmp_eq_u32_e32 vcc, 0, v2
	s_and_saveexec_b64 s[20:21], vcc
	s_cbranch_execz .LBB2_31
; %bb.30:
	v_lshlrev_b32_e32 v5, 2, v13
	ds_write_b32 v5, v4
.LBB2_31:
	s_or_b64 exec, exec, s[20:21]
	v_add_co_u32_e32 v14, vcc, 63, v10
	v_addc_co_u32_e32 v15, vcc, 0, v12, vcc
	s_mov_b64 s[20:21], 0x7f
	v_cmp_gt_u64_e32 vcc, s[20:21], v[14:15]
	s_waitcnt lgkmcnt(0)
	s_barrier
	s_and_saveexec_b64 s[20:21], vcc
	s_cbranch_execz .LBB2_35
; %bb.32:
	v_lshlrev_b64 v[4:5], 6, v[2:3]
	v_cmp_gt_i64_e32 vcc, s[10:11], v[4:5]
	v_mov_b32_e32 v3, s30
	s_and_saveexec_b64 s[10:11], vcc
	s_cbranch_execz .LBB2_34
; %bb.33:
	v_lshlrev_b32_e32 v2, 2, v2
	ds_read_b32 v3, v2
.LBB2_34:
	s_or_b64 exec, exec, s[10:11]
	v_and_b32_e32 v2, 64, v9
	v_add_u32_e32 v2, 64, v2
	v_xor_b32_e32 v4, 1, v9
	v_cmp_lt_i32_e32 vcc, v4, v2
	v_cndmask_b32_e32 v4, v9, v4, vcc
	v_lshlrev_b32_e32 v4, 2, v4
	s_waitcnt lgkmcnt(0)
	ds_bpermute_b32 v4, v4, v3
	v_xor_b32_e32 v5, 2, v9
	v_cmp_lt_i32_e32 vcc, v5, v2
	s_waitcnt lgkmcnt(0)
	v_max_i32_e32 v3, v3, v4
	v_cndmask_b32_e32 v4, v9, v5, vcc
	v_lshlrev_b32_e32 v4, 2, v4
	ds_bpermute_b32 v4, v4, v3
	v_xor_b32_e32 v5, 4, v9
	v_cmp_lt_i32_e32 vcc, v5, v2
	s_waitcnt lgkmcnt(0)
	v_max_i32_e32 v3, v3, v4
	v_cndmask_b32_e32 v4, v9, v5, vcc
	v_lshlrev_b32_e32 v4, 2, v4
	ds_bpermute_b32 v4, v4, v3
	v_xor_b32_e32 v5, 8, v9
	v_cmp_lt_i32_e32 vcc, v5, v2
	v_cndmask_b32_e32 v2, v9, v5, vcc
	v_lshlrev_b32_e32 v2, 2, v2
	s_waitcnt lgkmcnt(0)
	v_max_i32_e32 v3, v3, v4
	ds_bpermute_b32 v2, v2, v3
	s_waitcnt lgkmcnt(0)
	v_max_i32_e32 v4, v3, v2
.LBB2_35:
	s_or_b64 exec, exec, s[20:21]
	s_barrier
.LBB2_36:
	v_mov_b32_e32 v2, 0
	ds_read_u8 v2, v2 offset:192
	v_cndmask_b32_e64 v4, v8, v4, s[0:1]
	s_waitcnt lgkmcnt(0)
	v_and_b32_e32 v2, 1, v2
	v_cmp_eq_u32_e64 s[20:21], 1, v2
.LBB2_37:
	s_and_b64 s[10:11], s[0:1], s[20:21]
	s_branch .LBB2_40
.LBB2_38:
	s_waitcnt lgkmcnt(0)
                                        ; implicit-def: $sgpr10_sgpr11
                                        ; implicit-def: $vgpr4
	s_cbranch_execz .LBB2_40
; %bb.39:
	v_cndmask_b32_e64 v4, v8, v11, s[0:1]
	s_andn2_b64 s[10:11], s[10:11], exec
	s_and_b64 s[0:1], s[0:1], exec
	s_or_b64 s[10:11], s[10:11], s[0:1]
.LBB2_40:
	s_and_saveexec_b64 s[0:1], s[10:11]
	s_cbranch_execz .LBB2_42
; %bb.41:
	s_ashr_i32 s17, s16, 31
	s_lshl_b64 s[10:11], s[16:17], 2
	s_add_u32 s10, s18, s10
	s_addc_u32 s11, s19, s11
	v_pk_mov_b32 v[2:3], s[10:11], s[10:11] op_sel:[0,1]
	flat_store_dword v[2:3], v4
.LBB2_42:
	s_or_b64 exec, exec, s[0:1]
	s_load_dwordx4 s[16:19], s[4:5], 0x0
	s_cmp_lg_u64 s[12:13], 0
	s_cbranch_scc1 .LBB2_3
.LBB2_43:
	s_load_dwordx2 s[0:1], s[4:5], 0xb0
	s_add_u32 s7, s4, 0xb0
	v_mov_b32_e32 v2, 0
	global_load_dword v3, v2, s[4:5] offset:190
	s_addc_u32 s11, s5, 0
	s_waitcnt lgkmcnt(0)
	s_cmp_lt_u32 s6, s0
	s_cselect_b32 s10, 12, 18
	s_add_u32 s10, s7, s10
	s_addc_u32 s11, s11, 0
	global_load_ushort v2, v2, s[10:11]
	v_bfe_u32 v4, v0, 10, 10
	v_bfe_u32 v5, v0, 20, 10
	s_mov_b32 s21, 0
	s_mov_b64 s[12:13], 0
	s_waitcnt vmcnt(0)
	v_readfirstlane_b32 s7, v3
	s_lshr_b32 s10, s7, 16
	s_and_b32 s7, s7, 0xffff
	v_readfirstlane_b32 s11, v2
	s_mul_i32 s7, s7, s11
	s_mul_i32 s10, s7, s10
	v_mul_u32_u24_e32 v3, v4, v2
	v_mul_lo_u32 v2, s7, v5
	s_ashr_i32 s11, s10, 31
	s_and_b32 s20, s10, 63
	v_add3_u32 v9, v3, v1, v2
	s_cmp_lg_u64 s[20:21], 0
	v_mbcnt_lo_u32_b32 v2, -1, 0
	s_cselect_b64 s[24:25], -1, 0
	s_cmp_eq_u64 s[20:21], 0
	v_mbcnt_hi_u32_b32 v8, -1, v2
	s_cbranch_scc1 .LBB2_117
; %bb.44:
	v_and_b32_e32 v2, 64, v8
	v_xor_b32_e32 v3, 1, v9
	v_and_or_b32 v4, v3, 63, v2
	v_lshlrev_b32_e32 v4, 2, v4
	ds_bpermute_b32 v4, v4, v7
	v_xor_b32_e32 v5, 2, v9
	v_and_or_b32 v10, v5, 63, v2
	v_cmp_gt_i32_e32 vcc, s10, v3
	s_waitcnt lgkmcnt(0)
	v_min_i32_e32 v4, v4, v7
	v_cndmask_b32_e32 v3, v7, v4, vcc
	v_lshlrev_b32_e32 v4, 2, v10
	ds_bpermute_b32 v4, v4, v3
	v_xor_b32_e32 v10, 4, v9
	v_and_or_b32 v11, v10, 63, v2
	v_cmp_gt_i32_e32 vcc, s10, v5
	v_xor_b32_e32 v5, 8, v9
	s_waitcnt lgkmcnt(0)
	v_min_i32_e32 v4, v4, v3
	v_cndmask_b32_e32 v3, v3, v4, vcc
	v_lshlrev_b32_e32 v4, 2, v11
	ds_bpermute_b32 v4, v4, v3
	v_and_or_b32 v11, v5, 63, v2
	v_cmp_gt_i32_e32 vcc, s10, v10
	v_xor_b32_e32 v10, 16, v9
	s_waitcnt lgkmcnt(0)
	v_min_i32_e32 v4, v4, v3
	v_cndmask_b32_e32 v3, v3, v4, vcc
	v_lshlrev_b32_e32 v4, 2, v11
	ds_bpermute_b32 v4, v4, v3
	v_and_or_b32 v11, v10, 63, v2
	v_cmp_gt_i32_e32 vcc, s10, v5
	v_xor_b32_e32 v5, 32, v9
	v_and_or_b32 v2, v5, 63, v2
	s_waitcnt lgkmcnt(0)
	v_min_i32_e32 v4, v4, v3
	v_cndmask_b32_e32 v3, v3, v4, vcc
	v_lshlrev_b32_e32 v4, 2, v11
	ds_bpermute_b32 v4, v4, v3
	v_cmp_gt_i32_e32 vcc, s10, v10
	v_lshlrev_b32_e32 v2, 2, v2
	s_waitcnt lgkmcnt(0)
	v_min_i32_e32 v4, v4, v3
	v_cndmask_b32_e32 v3, v3, v4, vcc
	ds_bpermute_b32 v2, v2, v3
	v_cmp_gt_i32_e32 vcc, s10, v5
	s_waitcnt lgkmcnt(0)
	v_min_i32_e32 v2, v2, v3
	v_cndmask_b32_e32 v10, v3, v2, vcc
	s_andn2_b64 vcc, exec, s[12:13]
	s_cbranch_vccnz .LBB2_46
.LBB2_45:
	v_and_b32_e32 v2, 64, v8
	v_add_u32_e32 v2, 64, v2
	v_xor_b32_e32 v3, 1, v8
	v_cmp_lt_i32_e32 vcc, v3, v2
	v_cndmask_b32_e32 v3, v8, v3, vcc
	v_lshlrev_b32_e32 v3, 2, v3
	ds_bpermute_b32 v3, v3, v7
	v_xor_b32_e32 v4, 2, v8
	v_cmp_lt_i32_e32 vcc, v4, v2
	v_cndmask_b32_e32 v4, v8, v4, vcc
	v_lshlrev_b32_e32 v4, 2, v4
	s_waitcnt lgkmcnt(0)
	v_min_i32_e32 v3, v3, v7
	ds_bpermute_b32 v4, v4, v3
	v_xor_b32_e32 v5, 4, v8
	v_cmp_lt_i32_e32 vcc, v5, v2
	s_waitcnt lgkmcnt(0)
	v_min_i32_e32 v3, v4, v3
	v_cndmask_b32_e32 v4, v8, v5, vcc
	v_lshlrev_b32_e32 v4, 2, v4
	ds_bpermute_b32 v4, v4, v3
	v_xor_b32_e32 v5, 8, v8
	v_cmp_lt_i32_e32 vcc, v5, v2
	s_waitcnt lgkmcnt(0)
	v_min_i32_e32 v3, v4, v3
	v_cndmask_b32_e32 v4, v8, v5, vcc
	v_lshlrev_b32_e32 v4, 2, v4
	ds_bpermute_b32 v4, v4, v3
	v_xor_b32_e32 v5, 16, v8
	v_cmp_lt_i32_e32 vcc, v5, v2
	s_waitcnt lgkmcnt(0)
	v_min_i32_e32 v3, v4, v3
	v_cndmask_b32_e32 v4, v8, v5, vcc
	v_lshlrev_b32_e32 v4, 2, v4
	ds_bpermute_b32 v4, v4, v3
	v_xor_b32_e32 v5, 32, v8
	v_cmp_lt_i32_e32 vcc, v5, v2
	v_cndmask_b32_e32 v2, v8, v5, vcc
	v_lshlrev_b32_e32 v2, 2, v2
	s_waitcnt lgkmcnt(0)
	v_min_i32_e32 v3, v4, v3
	ds_bpermute_b32 v2, v2, v3
	s_waitcnt lgkmcnt(0)
	v_min_i32_e32 v10, v2, v3
.LBB2_46:
	v_ashrrev_i32_e32 v11, 31, v9
	s_load_dword s7, s[4:5], 0xb8
	v_lshrrev_b32_e32 v2, 26, v11
	v_add_u32_e32 v2, v9, v2
	v_ashrrev_i32_e32 v12, 6, v2
	v_and_b32_e32 v2, 0xffffffc0, v2
	v_sub_u32_e32 v2, v9, v2
	s_cmp_gt_i32 s10, 64
	s_cselect_b64 s[26:27], -1, 0
	s_cmpk_lt_i32 s10, 0x41
	v_ashrrev_i32_e32 v3, 31, v2
	s_cbranch_scc1 .LBB2_54
; %bb.47:
	v_cmp_eq_u32_e32 vcc, 0, v2
	s_and_saveexec_b64 s[12:13], vcc
	s_cbranch_execz .LBB2_49
; %bb.48:
	v_lshlrev_b32_e32 v4, 2, v12
	ds_write_b32 v4, v10 offset:64
.LBB2_49:
	s_or_b64 exec, exec, s[12:13]
	v_add_co_u32_e32 v4, vcc, 63, v9
	v_addc_co_u32_e32 v5, vcc, 0, v11, vcc
	s_mov_b64 s[12:13], 0x7f
	v_cmp_gt_u64_e32 vcc, s[12:13], v[4:5]
	s_waitcnt lgkmcnt(0)
	s_barrier
	s_and_saveexec_b64 s[12:13], vcc
	s_cbranch_execz .LBB2_53
; %bb.50:
	v_lshlrev_b64 v[4:5], 6, v[2:3]
	v_cmp_gt_i64_e32 vcc, s[10:11], v[4:5]
	v_mov_b32_e32 v4, s9
	s_and_saveexec_b64 s[20:21], vcc
	s_cbranch_execz .LBB2_52
; %bb.51:
	v_lshlrev_b32_e32 v4, 2, v2
	ds_read_b32 v4, v4 offset:64
.LBB2_52:
	s_or_b64 exec, exec, s[20:21]
	v_and_b32_e32 v5, 64, v8
	v_add_u32_e32 v5, 64, v5
	v_xor_b32_e32 v10, 1, v8
	v_cmp_lt_i32_e32 vcc, v10, v5
	v_cndmask_b32_e32 v10, v8, v10, vcc
	v_lshlrev_b32_e32 v10, 2, v10
	s_waitcnt lgkmcnt(0)
	ds_bpermute_b32 v10, v10, v4
	v_xor_b32_e32 v13, 2, v8
	v_cmp_lt_i32_e32 vcc, v13, v5
	s_waitcnt lgkmcnt(0)
	v_min_i32_e32 v4, v10, v4
	v_cndmask_b32_e32 v10, v8, v13, vcc
	v_lshlrev_b32_e32 v10, 2, v10
	ds_bpermute_b32 v10, v10, v4
	v_xor_b32_e32 v13, 4, v8
	v_cmp_lt_i32_e32 vcc, v13, v5
	s_waitcnt lgkmcnt(0)
	v_min_i32_e32 v4, v10, v4
	v_cndmask_b32_e32 v10, v8, v13, vcc
	v_lshlrev_b32_e32 v10, 2, v10
	ds_bpermute_b32 v10, v10, v4
	v_xor_b32_e32 v13, 8, v8
	v_cmp_lt_i32_e32 vcc, v13, v5
	v_cndmask_b32_e32 v5, v8, v13, vcc
	v_lshlrev_b32_e32 v5, 2, v5
	s_waitcnt lgkmcnt(0)
	v_min_i32_e32 v4, v10, v4
	ds_bpermute_b32 v5, v5, v4
	s_waitcnt lgkmcnt(0)
	v_min_i32_e32 v10, v5, v4
.LBB2_53:
	s_or_b64 exec, exec, s[12:13]
	s_barrier
.LBB2_54:
	s_mul_i32 s12, s0, s2
	s_mul_i32 s0, s1, s0
	s_add_i32 s12, s12, s6
	s_mul_i32 s1, s0, s8
	s_add_i32 s1, s12, s1
	s_waitcnt lgkmcnt(0)
	s_mul_i32 s13, s7, s0
	s_ashr_i32 s0, s1, 31
	s_lshr_b32 s0, s0, 27
	s_add_i32 s30, s1, s0
	s_and_b32 s0, s30, 0xffffffe0
	s_sub_i32 s12, s1, s0
	s_ashr_i32 s0, s13, 31
	s_lshr_b32 s0, s0, 27
	s_add_i32 s0, s13, s0
	s_ashr_i32 s7, s0, 5
	s_andn2_b32 s0, s0, 31
	s_sub_i32 s0, s13, s0
	s_load_dwordx4 s[20:23], s[4:5], 0x50
	s_cmp_lt_i32 s12, s0
	s_cselect_b64 s[0:1], -1, 0
	s_cmp_lg_u64 s[0:1], 0
	s_addc_u32 s7, s7, 0
	s_cmp_gt_u32 s7, 1
	v_cmp_eq_u32_e64 s[0:1], 0, v9
	s_cbranch_scc0 .LBB2_75
; %bb.55:
	s_add_i32 s13, s13, 31
	s_ashr_i32 s28, s13, 31
	s_lshr_b32 s28, s28, 27
	s_add_i32 s13, s13, s28
	s_ashr_i32 s13, s13, 5
	s_mul_i32 s13, s13, s12
	s_and_saveexec_b64 s[28:29], s[0:1]
	s_cbranch_execz .LBB2_57
; %bb.56:
	s_ashr_i32 s31, s30, 5
	s_add_i32 s34, s13, s31
	s_ashr_i32 s35, s34, 31
	s_lshl_b32 s30, s12, 4
	s_lshl_b64 s[34:35], s[34:35], 2
	s_waitcnt lgkmcnt(0)
	s_add_u32 s34, s22, s34
	s_addc_u32 s35, s23, s35
	s_ashr_i32 s31, s30, 31
	s_lshl_b64 s[30:31], s[30:31], 2
	s_add_u32 s20, s20, s30
	v_pk_mov_b32 v[4:5], s[34:35], s[34:35] op_sel:[0,1]
	s_addc_u32 s21, s21, s31
	s_add_i32 s30, s7, -1
	flat_store_dword v[4:5], v10
	v_mov_b32_e32 v4, 0
	v_mov_b32_e32 v5, s30
	s_waitcnt vmcnt(0) lgkmcnt(0)
	global_atomic_inc v5, v4, v5, s[20:21] glc
	s_waitcnt vmcnt(0)
	v_cmp_eq_u32_e32 vcc, s30, v5
	v_cndmask_b32_e64 v5, 0, 1, vcc
	ds_write_b8 v4, v5 offset:193
.LBB2_57:
	s_or_b64 exec, exec, s[28:29]
	v_mov_b32_e32 v4, 0
	s_waitcnt lgkmcnt(0)
	s_barrier
	ds_read_u8 v4, v4 offset:193
	s_mov_b64 s[20:21], 0
	s_waitcnt lgkmcnt(0)
	v_cmp_eq_u32_e32 vcc, 0, v4
	v_mov_b32_e32 v4, v7
	s_cbranch_vccnz .LBB2_74
; %bb.58:
	v_cmp_gt_u32_e32 vcc, s7, v9
	v_mov_b32_e32 v13, s9
	s_and_saveexec_b64 s[20:21], vcc
	s_cbranch_execz .LBB2_62
; %bb.59:
	s_mov_b64 s[28:29], 0
	v_mov_b32_e32 v13, s9
	v_mov_b32_e32 v5, 0
	;; [unrolled: 1-line block ×4, first 2 shown]
.LBB2_60:                               ; =>This Inner Loop Header: Depth=1
	v_add_u32_e32 v4, s13, v15
	v_lshlrev_b64 v[16:17], 2, v[4:5]
	v_add_co_u32_e32 v16, vcc, s22, v16
	v_addc_co_u32_e32 v17, vcc, v14, v17, vcc
	flat_load_dword v4, v[16:17] glc
	v_add_u32_e32 v15, s10, v15
	v_cmp_le_u32_e32 vcc, s7, v15
	s_or_b64 s[28:29], vcc, s[28:29]
	s_waitcnt vmcnt(0) lgkmcnt(0)
	v_min_i32_e32 v13, v4, v13
	s_andn2_b64 exec, exec, s[28:29]
	s_cbranch_execnz .LBB2_60
; %bb.61:
	s_or_b64 exec, exec, s[28:29]
.LBB2_62:
	s_or_b64 exec, exec, s[20:21]
	s_andn2_b64 vcc, exec, s[24:25]
	s_cbranch_vccnz .LBB2_120
; %bb.63:
	v_and_b32_e32 v4, 64, v8
	v_xor_b32_e32 v5, 1, v9
	v_and_or_b32 v14, v5, 63, v4
	v_lshlrev_b32_e32 v14, 2, v14
	ds_bpermute_b32 v14, v14, v13
	v_xor_b32_e32 v15, 2, v9
	v_and_or_b32 v16, v15, 63, v4
	v_cmp_gt_i32_e32 vcc, s10, v5
	s_waitcnt lgkmcnt(0)
	v_min_i32_e32 v14, v14, v13
	v_cndmask_b32_e32 v5, v13, v14, vcc
	v_lshlrev_b32_e32 v14, 2, v16
	ds_bpermute_b32 v14, v14, v5
	v_xor_b32_e32 v16, 4, v9
	v_and_or_b32 v17, v16, 63, v4
	v_cmp_gt_i32_e32 vcc, s10, v15
	v_xor_b32_e32 v15, 8, v9
	s_waitcnt lgkmcnt(0)
	v_min_i32_e32 v14, v14, v5
	v_cndmask_b32_e32 v5, v5, v14, vcc
	v_lshlrev_b32_e32 v14, 2, v17
	ds_bpermute_b32 v14, v14, v5
	v_and_or_b32 v17, v15, 63, v4
	v_cmp_gt_i32_e32 vcc, s10, v16
	v_xor_b32_e32 v16, 16, v9
	s_waitcnt lgkmcnt(0)
	v_min_i32_e32 v14, v14, v5
	v_cndmask_b32_e32 v5, v5, v14, vcc
	v_lshlrev_b32_e32 v14, 2, v17
	ds_bpermute_b32 v14, v14, v5
	v_and_or_b32 v17, v16, 63, v4
	v_cmp_gt_i32_e32 vcc, s10, v15
	v_xor_b32_e32 v15, 32, v9
	v_and_or_b32 v4, v15, 63, v4
	s_waitcnt lgkmcnt(0)
	v_min_i32_e32 v14, v14, v5
	v_cndmask_b32_e32 v5, v5, v14, vcc
	v_lshlrev_b32_e32 v14, 2, v17
	ds_bpermute_b32 v14, v14, v5
	v_cmp_gt_i32_e32 vcc, s10, v16
	v_lshlrev_b32_e32 v4, 2, v4
	s_waitcnt lgkmcnt(0)
	v_min_i32_e32 v14, v14, v5
	v_cndmask_b32_e32 v5, v5, v14, vcc
	ds_bpermute_b32 v4, v4, v5
	v_cmp_gt_i32_e32 vcc, s10, v15
	s_waitcnt lgkmcnt(0)
	v_min_i32_e32 v4, v4, v5
	v_cndmask_b32_e32 v4, v5, v4, vcc
	s_cbranch_execnz .LBB2_65
.LBB2_64:
	v_and_b32_e32 v4, 64, v8
	v_add_u32_e32 v4, 64, v4
	v_xor_b32_e32 v5, 1, v8
	v_cmp_lt_i32_e32 vcc, v5, v4
	v_cndmask_b32_e32 v5, v8, v5, vcc
	v_lshlrev_b32_e32 v5, 2, v5
	ds_bpermute_b32 v5, v5, v13
	v_xor_b32_e32 v14, 2, v8
	v_cmp_lt_i32_e32 vcc, v14, v4
	s_waitcnt lgkmcnt(0)
	v_min_i32_e32 v5, v5, v13
	v_cndmask_b32_e32 v13, v8, v14, vcc
	v_lshlrev_b32_e32 v13, 2, v13
	ds_bpermute_b32 v13, v13, v5
	v_xor_b32_e32 v14, 4, v8
	v_cmp_lt_i32_e32 vcc, v14, v4
	s_waitcnt lgkmcnt(0)
	v_min_i32_e32 v5, v13, v5
	;; [unrolled: 7-line block ×4, first 2 shown]
	v_cndmask_b32_e32 v13, v8, v14, vcc
	v_lshlrev_b32_e32 v13, 2, v13
	ds_bpermute_b32 v13, v13, v5
	v_xor_b32_e32 v14, 32, v8
	v_cmp_lt_i32_e32 vcc, v14, v4
	v_cndmask_b32_e32 v4, v8, v14, vcc
	v_lshlrev_b32_e32 v4, 2, v4
	s_waitcnt lgkmcnt(0)
	v_min_i32_e32 v5, v13, v5
	ds_bpermute_b32 v4, v4, v5
	s_waitcnt lgkmcnt(0)
	v_min_i32_e32 v4, v4, v5
.LBB2_65:
	s_andn2_b64 vcc, exec, s[26:27]
	s_cbranch_vccnz .LBB2_73
; %bb.66:
	v_cmp_eq_u32_e32 vcc, 0, v2
	s_and_saveexec_b64 s[20:21], vcc
	s_cbranch_execz .LBB2_68
; %bb.67:
	v_lshlrev_b32_e32 v5, 2, v12
	ds_write_b32 v5, v4 offset:64
.LBB2_68:
	s_or_b64 exec, exec, s[20:21]
	v_add_co_u32_e32 v12, vcc, 63, v9
	v_addc_co_u32_e32 v13, vcc, 0, v11, vcc
	s_mov_b64 s[20:21], 0x7f
	v_cmp_gt_u64_e32 vcc, s[20:21], v[12:13]
	s_waitcnt lgkmcnt(0)
	s_barrier
	s_and_saveexec_b64 s[20:21], vcc
	s_cbranch_execz .LBB2_72
; %bb.69:
	v_lshlrev_b64 v[4:5], 6, v[2:3]
	v_cmp_gt_i64_e32 vcc, s[10:11], v[4:5]
	v_mov_b32_e32 v3, s9
	s_and_saveexec_b64 s[10:11], vcc
	s_cbranch_execz .LBB2_71
; %bb.70:
	v_lshlrev_b32_e32 v2, 2, v2
	ds_read_b32 v3, v2 offset:64
.LBB2_71:
	s_or_b64 exec, exec, s[10:11]
	v_and_b32_e32 v2, 64, v8
	v_add_u32_e32 v2, 64, v2
	v_xor_b32_e32 v4, 1, v8
	v_cmp_lt_i32_e32 vcc, v4, v2
	v_cndmask_b32_e32 v4, v8, v4, vcc
	v_lshlrev_b32_e32 v4, 2, v4
	s_waitcnt lgkmcnt(0)
	ds_bpermute_b32 v4, v4, v3
	v_xor_b32_e32 v5, 2, v8
	v_cmp_lt_i32_e32 vcc, v5, v2
	s_waitcnt lgkmcnt(0)
	v_min_i32_e32 v3, v4, v3
	v_cndmask_b32_e32 v4, v8, v5, vcc
	v_lshlrev_b32_e32 v4, 2, v4
	ds_bpermute_b32 v4, v4, v3
	v_xor_b32_e32 v5, 4, v8
	v_cmp_lt_i32_e32 vcc, v5, v2
	s_waitcnt lgkmcnt(0)
	v_min_i32_e32 v3, v4, v3
	v_cndmask_b32_e32 v4, v8, v5, vcc
	v_lshlrev_b32_e32 v4, 2, v4
	ds_bpermute_b32 v4, v4, v3
	v_xor_b32_e32 v5, 8, v8
	v_cmp_lt_i32_e32 vcc, v5, v2
	v_cndmask_b32_e32 v2, v8, v5, vcc
	v_lshlrev_b32_e32 v2, 2, v2
	s_waitcnt lgkmcnt(0)
	v_min_i32_e32 v3, v4, v3
	ds_bpermute_b32 v2, v2, v3
	s_waitcnt lgkmcnt(0)
	v_min_i32_e32 v4, v2, v3
.LBB2_72:
	s_or_b64 exec, exec, s[20:21]
	s_barrier
.LBB2_73:
	v_mov_b32_e32 v2, 0
	ds_read_u8 v2, v2 offset:193
	v_cndmask_b32_e64 v4, v7, v4, s[0:1]
	s_waitcnt lgkmcnt(0)
	v_and_b32_e32 v2, 1, v2
	v_cmp_eq_u32_e64 s[20:21], 1, v2
.LBB2_74:
	s_and_b64 s[10:11], s[0:1], s[20:21]
	s_branch .LBB2_77
.LBB2_75:
	s_waitcnt lgkmcnt(0)
                                        ; implicit-def: $sgpr10_sgpr11
                                        ; implicit-def: $vgpr4
	s_cbranch_execz .LBB2_77
; %bb.76:
	v_cndmask_b32_e64 v4, v7, v10, s[0:1]
	s_andn2_b64 s[10:11], s[10:11], exec
	s_and_b64 s[0:1], s[0:1], exec
	s_or_b64 s[10:11], s[10:11], s[0:1]
.LBB2_77:
	s_and_saveexec_b64 s[0:1], s[10:11]
	s_cbranch_execz .LBB2_79
; %bb.78:
	s_ashr_i32 s13, s12, 31
	s_lshl_b64 s[10:11], s[12:13], 2
	s_add_u32 s10, s14, s10
	s_addc_u32 s11, s15, s11
	v_pk_mov_b32 v[2:3], s[10:11], s[10:11] op_sel:[0,1]
	flat_store_dword v[2:3], v4
.LBB2_79:
	s_or_b64 exec, exec, s[0:1]
	s_cmp_lg_u64 s[16:17], 0
	s_cbranch_scc1 .LBB2_4
.LBB2_80:
	s_load_dwordx2 s[0:1], s[4:5], 0xb0
	s_add_u32 s7, s4, 0xb0
	v_mov_b32_e32 v2, 0
	global_load_dword v3, v2, s[4:5] offset:190
	s_addc_u32 s9, s5, 0
	s_waitcnt lgkmcnt(0)
	s_cmp_lt_u32 s6, s0
	s_cselect_b32 s10, 12, 18
	s_add_u32 s10, s7, s10
	s_addc_u32 s11, s9, 0
	global_load_ushort v2, v2, s[10:11]
	v_bfe_u32 v4, v0, 10, 10
	v_bfe_u32 v0, v0, 20, 10
	s_mov_b32 s13, 0
	s_waitcnt vmcnt(0)
	v_readfirstlane_b32 s7, v3
	s_lshr_b32 s9, s7, 16
	s_and_b32 s7, s7, 0xffff
	v_readfirstlane_b32 s10, v2
	s_mul_i32 s7, s7, s10
	s_mul_i32 s10, s7, s9
	v_mul_u32_u24_e32 v3, v4, v2
	v_mul_lo_u32 v0, s7, v0
	s_ashr_i32 s11, s10, 31
	s_and_b32 s12, s10, 63
	v_add3_u32 v5, v3, v1, v0
	s_cmp_lg_u64 s[12:13], 0
	v_mbcnt_lo_u32_b32 v0, -1, 0
	s_cselect_b64 s[16:17], -1, 0
	s_cmp_eq_u64 s[12:13], 0
	v_mbcnt_hi_u32_b32 v4, -1, v0
	s_cbranch_scc1 .LBB2_118
; %bb.81:
	v_and_b32_e32 v0, 64, v4
	v_xor_b32_e32 v1, 1, v5
	v_and_or_b32 v2, v1, 63, v0
	v_lshlrev_b32_e32 v2, 2, v2
	ds_bpermute_b32 v2, v2, v6
	v_xor_b32_e32 v3, 2, v5
	v_cmp_gt_i32_e32 vcc, s10, v1
	v_and_or_b32 v7, v3, 63, v0
	s_waitcnt lgkmcnt(0)
	v_cndmask_b32_e32 v1, 0, v2, vcc
	v_add_u32_e32 v1, v1, v6
	v_lshlrev_b32_e32 v2, 2, v7
	ds_bpermute_b32 v2, v2, v1
	v_xor_b32_e32 v7, 4, v5
	v_cmp_gt_i32_e32 vcc, s10, v3
	v_and_or_b32 v8, v7, 63, v0
	v_xor_b32_e32 v3, 8, v5
	s_waitcnt lgkmcnt(0)
	v_cndmask_b32_e32 v2, 0, v2, vcc
	v_add_u32_e32 v1, v2, v1
	v_lshlrev_b32_e32 v2, 2, v8
	ds_bpermute_b32 v2, v2, v1
	v_cmp_gt_i32_e32 vcc, s10, v7
	v_and_or_b32 v8, v3, 63, v0
	v_xor_b32_e32 v7, 16, v5
	s_waitcnt lgkmcnt(0)
	v_cndmask_b32_e32 v2, 0, v2, vcc
	v_add_u32_e32 v1, v2, v1
	v_lshlrev_b32_e32 v2, 2, v8
	ds_bpermute_b32 v2, v2, v1
	v_cmp_gt_i32_e32 vcc, s10, v3
	v_and_or_b32 v8, v7, 63, v0
	v_xor_b32_e32 v3, 32, v5
	v_and_or_b32 v0, v3, 63, v0
	s_waitcnt lgkmcnt(0)
	v_cndmask_b32_e32 v2, 0, v2, vcc
	v_add_u32_e32 v1, v2, v1
	v_lshlrev_b32_e32 v2, 2, v8
	ds_bpermute_b32 v2, v2, v1
	v_cmp_gt_i32_e32 vcc, s10, v7
	v_lshlrev_b32_e32 v0, 2, v0
	s_waitcnt lgkmcnt(0)
	v_cndmask_b32_e32 v2, 0, v2, vcc
	v_add_u32_e32 v1, v2, v1
	ds_bpermute_b32 v0, v0, v1
	v_cmp_gt_i32_e32 vcc, s10, v3
	s_waitcnt lgkmcnt(0)
	v_cndmask_b32_e32 v0, 0, v0, vcc
	v_add_u32_e32 v7, v0, v1
	s_cbranch_execnz .LBB2_83
.LBB2_82:
	v_and_b32_e32 v0, 64, v4
	v_add_u32_e32 v0, 64, v0
	v_xor_b32_e32 v1, 1, v4
	v_cmp_lt_i32_e32 vcc, v1, v0
	v_cndmask_b32_e32 v1, v4, v1, vcc
	v_lshlrev_b32_e32 v1, 2, v1
	ds_bpermute_b32 v1, v1, v6
	v_xor_b32_e32 v2, 2, v4
	v_cmp_lt_i32_e32 vcc, v2, v0
	v_cndmask_b32_e32 v2, v4, v2, vcc
	v_lshlrev_b32_e32 v2, 2, v2
	s_waitcnt lgkmcnt(0)
	v_add_u32_e32 v1, v1, v6
	ds_bpermute_b32 v2, v2, v1
	v_xor_b32_e32 v3, 4, v4
	v_cmp_lt_i32_e32 vcc, v3, v0
	s_waitcnt lgkmcnt(0)
	v_add_u32_e32 v1, v2, v1
	v_cndmask_b32_e32 v2, v4, v3, vcc
	v_lshlrev_b32_e32 v2, 2, v2
	ds_bpermute_b32 v2, v2, v1
	v_xor_b32_e32 v3, 8, v4
	v_cmp_lt_i32_e32 vcc, v3, v0
	s_waitcnt lgkmcnt(0)
	v_add_u32_e32 v1, v2, v1
	v_cndmask_b32_e32 v2, v4, v3, vcc
	v_lshlrev_b32_e32 v2, 2, v2
	;; [unrolled: 7-line block ×3, first 2 shown]
	ds_bpermute_b32 v2, v2, v1
	v_xor_b32_e32 v3, 32, v4
	v_cmp_lt_i32_e32 vcc, v3, v0
	v_cndmask_b32_e32 v0, v4, v3, vcc
	v_lshlrev_b32_e32 v0, 2, v0
	s_waitcnt lgkmcnt(0)
	v_add_u32_e32 v1, v2, v1
	ds_bpermute_b32 v0, v0, v1
	s_waitcnt lgkmcnt(0)
	v_add_u32_e32 v7, v0, v1
.LBB2_83:
	v_ashrrev_i32_e32 v8, 31, v5
	s_load_dword s7, s[4:5], 0xb8
	v_lshrrev_b32_e32 v0, 26, v8
	v_add_u32_e32 v0, v5, v0
	v_ashrrev_i32_e32 v9, 6, v0
	v_and_b32_e32 v0, 0xffffffc0, v0
	v_sub_u32_e32 v0, v5, v0
	s_cmp_gt_i32 s10, 64
	s_cselect_b64 s[20:21], -1, 0
	s_cmpk_lt_i32 s10, 0x41
	v_ashrrev_i32_e32 v1, 31, v0
	s_cbranch_scc1 .LBB2_91
; %bb.84:
	v_cmp_eq_u32_e32 vcc, 0, v0
	s_and_saveexec_b64 s[12:13], vcc
	s_cbranch_execz .LBB2_86
; %bb.85:
	v_lshlrev_b32_e32 v2, 2, v9
	ds_write_b32 v2, v7 offset:128
.LBB2_86:
	s_or_b64 exec, exec, s[12:13]
	v_add_co_u32_e32 v2, vcc, 63, v5
	v_addc_co_u32_e32 v3, vcc, 0, v8, vcc
	s_mov_b64 s[12:13], 0x7f
	v_cmp_gt_u64_e32 vcc, s[12:13], v[2:3]
	s_waitcnt lgkmcnt(0)
	s_barrier
	s_and_saveexec_b64 s[12:13], vcc
	s_cbranch_execz .LBB2_90
; %bb.87:
	v_lshlrev_b64 v[2:3], 6, v[0:1]
	v_cmp_gt_i64_e32 vcc, s[10:11], v[2:3]
	v_mov_b32_e32 v2, s3
	s_and_saveexec_b64 s[14:15], vcc
	s_cbranch_execz .LBB2_89
; %bb.88:
	v_lshlrev_b32_e32 v2, 2, v0
	ds_read_b32 v2, v2 offset:128
.LBB2_89:
	s_or_b64 exec, exec, s[14:15]
	v_and_b32_e32 v3, 64, v4
	v_add_u32_e32 v3, 64, v3
	v_xor_b32_e32 v7, 1, v4
	v_cmp_lt_i32_e32 vcc, v7, v3
	v_cndmask_b32_e32 v7, v4, v7, vcc
	v_lshlrev_b32_e32 v7, 2, v7
	s_waitcnt lgkmcnt(0)
	ds_bpermute_b32 v7, v7, v2
	v_xor_b32_e32 v10, 2, v4
	v_cmp_lt_i32_e32 vcc, v10, v3
	s_waitcnt lgkmcnt(0)
	v_add_u32_e32 v2, v7, v2
	v_cndmask_b32_e32 v7, v4, v10, vcc
	v_lshlrev_b32_e32 v7, 2, v7
	ds_bpermute_b32 v7, v7, v2
	v_xor_b32_e32 v10, 4, v4
	v_cmp_lt_i32_e32 vcc, v10, v3
	s_waitcnt lgkmcnt(0)
	v_add_u32_e32 v2, v7, v2
	v_cndmask_b32_e32 v7, v4, v10, vcc
	v_lshlrev_b32_e32 v7, 2, v7
	ds_bpermute_b32 v7, v7, v2
	v_xor_b32_e32 v10, 8, v4
	v_cmp_lt_i32_e32 vcc, v10, v3
	v_cndmask_b32_e32 v3, v4, v10, vcc
	v_lshlrev_b32_e32 v3, 2, v3
	s_waitcnt lgkmcnt(0)
	v_add_u32_e32 v2, v7, v2
	ds_bpermute_b32 v3, v3, v2
	s_waitcnt lgkmcnt(0)
	v_add_u32_e32 v7, v3, v2
.LBB2_90:
	s_or_b64 exec, exec, s[12:13]
	s_barrier
.LBB2_91:
	s_mul_i32 s2, s0, s2
	s_mul_i32 s0, s1, s0
	s_add_i32 s2, s2, s6
	s_mul_i32 s1, s0, s8
	s_add_i32 s1, s2, s1
	s_load_dwordx4 s[12:15], s[4:5], 0x18
	s_waitcnt lgkmcnt(0)
	s_mul_i32 s4, s7, s0
	s_ashr_i32 s0, s1, 31
	s_lshr_b32 s0, s0, 27
	s_add_i32 s6, s1, s0
	s_and_b32 s0, s6, 0xffffffe0
	s_sub_i32 s2, s1, s0
	s_ashr_i32 s0, s4, 31
	s_lshr_b32 s0, s0, 27
	s_add_i32 s0, s4, s0
	s_ashr_i32 s5, s0, 5
	s_andn2_b32 s0, s0, 31
	s_sub_i32 s0, s4, s0
	s_cmp_lt_i32 s2, s0
	s_cselect_b64 s[0:1], -1, 0
	s_cmp_lg_u64 s[0:1], 0
	s_addc_u32 s8, s5, 0
	s_cmp_gt_u32 s8, 1
	v_cmp_eq_u32_e64 s[0:1], 0, v5
	s_cbranch_scc0 .LBB2_112
; %bb.92:
	s_add_i32 s4, s4, 31
	s_ashr_i32 s5, s4, 31
	s_lshr_b32 s5, s5, 27
	s_add_i32 s4, s4, s5
	s_ashr_i32 s9, s4, 5
	s_mul_i32 s9, s9, s2
	s_and_saveexec_b64 s[4:5], s[0:1]
	s_cbranch_execz .LBB2_94
; %bb.93:
	s_ashr_i32 s7, s6, 5
	s_add_i32 s22, s9, s7
	s_ashr_i32 s23, s22, 31
	s_lshl_b32 s6, s2, 4
	s_lshl_b64 s[22:23], s[22:23], 2
	s_add_u32 s22, s14, s22
	s_addc_u32 s23, s15, s23
	s_ashr_i32 s7, s6, 31
	s_lshl_b64 s[6:7], s[6:7], 2
	s_add_u32 s6, s12, s6
	v_pk_mov_b32 v[2:3], s[22:23], s[22:23] op_sel:[0,1]
	s_addc_u32 s7, s13, s7
	s_add_i32 s12, s8, -1
	flat_store_dword v[2:3], v7
	v_mov_b32_e32 v2, 0
	v_mov_b32_e32 v3, s12
	s_waitcnt vmcnt(0) lgkmcnt(0)
	global_atomic_inc v3, v2, v3, s[6:7] glc
	s_waitcnt vmcnt(0)
	v_cmp_eq_u32_e32 vcc, s12, v3
	v_cndmask_b32_e64 v3, 0, 1, vcc
	ds_write_b8 v2, v3 offset:194
.LBB2_94:
	s_or_b64 exec, exec, s[4:5]
	v_mov_b32_e32 v2, 0
	s_waitcnt lgkmcnt(0)
	s_barrier
	ds_read_u8 v2, v2 offset:194
	s_mov_b64 s[4:5], 0
	s_waitcnt lgkmcnt(0)
	v_cmp_eq_u32_e32 vcc, 0, v2
	v_mov_b32_e32 v2, v6
	s_cbranch_vccnz .LBB2_111
; %bb.95:
	v_cmp_gt_u32_e32 vcc, s8, v5
	v_mov_b32_e32 v10, s3
	s_and_saveexec_b64 s[4:5], vcc
	s_cbranch_execz .LBB2_99
; %bb.96:
	s_mov_b64 s[6:7], 0
	v_mov_b32_e32 v10, s3
	v_mov_b32_e32 v3, 0
	;; [unrolled: 1-line block ×4, first 2 shown]
.LBB2_97:                               ; =>This Inner Loop Header: Depth=1
	v_add_u32_e32 v2, s9, v12
	v_lshlrev_b64 v[14:15], 2, v[2:3]
	v_add_co_u32_e32 v14, vcc, s14, v14
	v_addc_co_u32_e32 v15, vcc, v11, v15, vcc
	flat_load_dword v2, v[14:15] glc
	v_add_u32_e32 v12, s10, v12
	v_cmp_le_u32_e32 vcc, s8, v12
	s_or_b64 s[6:7], vcc, s[6:7]
	s_waitcnt vmcnt(0) lgkmcnt(0)
	v_add_u32_e32 v10, v2, v10
	s_andn2_b64 exec, exec, s[6:7]
	s_cbranch_execnz .LBB2_97
; %bb.98:
	s_or_b64 exec, exec, s[6:7]
.LBB2_99:
	s_or_b64 exec, exec, s[4:5]
	s_andn2_b64 vcc, exec, s[16:17]
	s_cbranch_vccnz .LBB2_121
; %bb.100:
	v_and_b32_e32 v2, 64, v4
	v_xor_b32_e32 v3, 1, v5
	v_and_or_b32 v11, v3, 63, v2
	v_lshlrev_b32_e32 v11, 2, v11
	ds_bpermute_b32 v11, v11, v10
	v_xor_b32_e32 v12, 2, v5
	v_cmp_gt_i32_e32 vcc, s10, v3
	v_and_or_b32 v13, v12, 63, v2
	s_waitcnt lgkmcnt(0)
	v_cndmask_b32_e32 v3, 0, v11, vcc
	v_add_u32_e32 v3, v3, v10
	v_lshlrev_b32_e32 v11, 2, v13
	ds_bpermute_b32 v11, v11, v3
	v_xor_b32_e32 v13, 4, v5
	v_cmp_gt_i32_e32 vcc, s10, v12
	v_and_or_b32 v14, v13, 63, v2
	v_xor_b32_e32 v12, 8, v5
	s_waitcnt lgkmcnt(0)
	v_cndmask_b32_e32 v11, 0, v11, vcc
	v_add_u32_e32 v3, v11, v3
	v_lshlrev_b32_e32 v11, 2, v14
	ds_bpermute_b32 v11, v11, v3
	v_cmp_gt_i32_e32 vcc, s10, v13
	v_and_or_b32 v14, v12, 63, v2
	v_xor_b32_e32 v13, 16, v5
	s_waitcnt lgkmcnt(0)
	v_cndmask_b32_e32 v11, 0, v11, vcc
	v_add_u32_e32 v3, v11, v3
	v_lshlrev_b32_e32 v11, 2, v14
	ds_bpermute_b32 v11, v11, v3
	v_cmp_gt_i32_e32 vcc, s10, v12
	v_and_or_b32 v14, v13, 63, v2
	v_xor_b32_e32 v12, 32, v5
	v_and_or_b32 v2, v12, 63, v2
	s_waitcnt lgkmcnt(0)
	v_cndmask_b32_e32 v11, 0, v11, vcc
	v_add_u32_e32 v3, v11, v3
	v_lshlrev_b32_e32 v11, 2, v14
	ds_bpermute_b32 v11, v11, v3
	v_cmp_gt_i32_e32 vcc, s10, v13
	v_lshlrev_b32_e32 v2, 2, v2
	s_waitcnt lgkmcnt(0)
	v_cndmask_b32_e32 v11, 0, v11, vcc
	v_add_u32_e32 v3, v11, v3
	ds_bpermute_b32 v2, v2, v3
	v_cmp_gt_i32_e32 vcc, s10, v12
	s_waitcnt lgkmcnt(0)
	v_cndmask_b32_e32 v2, 0, v2, vcc
	v_add_u32_e32 v2, v2, v3
	s_cbranch_execnz .LBB2_102
.LBB2_101:
	v_and_b32_e32 v2, 64, v4
	v_add_u32_e32 v2, 64, v2
	v_xor_b32_e32 v3, 1, v4
	v_cmp_lt_i32_e32 vcc, v3, v2
	v_cndmask_b32_e32 v3, v4, v3, vcc
	v_lshlrev_b32_e32 v3, 2, v3
	ds_bpermute_b32 v3, v3, v10
	v_xor_b32_e32 v11, 2, v4
	v_cmp_lt_i32_e32 vcc, v11, v2
	s_waitcnt lgkmcnt(0)
	v_add_u32_e32 v3, v3, v10
	v_cndmask_b32_e32 v10, v4, v11, vcc
	v_lshlrev_b32_e32 v10, 2, v10
	ds_bpermute_b32 v10, v10, v3
	v_xor_b32_e32 v11, 4, v4
	v_cmp_lt_i32_e32 vcc, v11, v2
	s_waitcnt lgkmcnt(0)
	v_add_u32_e32 v3, v10, v3
	;; [unrolled: 7-line block ×4, first 2 shown]
	v_cndmask_b32_e32 v10, v4, v11, vcc
	v_lshlrev_b32_e32 v10, 2, v10
	ds_bpermute_b32 v10, v10, v3
	v_xor_b32_e32 v11, 32, v4
	v_cmp_lt_i32_e32 vcc, v11, v2
	v_cndmask_b32_e32 v2, v4, v11, vcc
	v_lshlrev_b32_e32 v2, 2, v2
	s_waitcnt lgkmcnt(0)
	v_add_u32_e32 v3, v10, v3
	ds_bpermute_b32 v2, v2, v3
	s_waitcnt lgkmcnt(0)
	v_add_u32_e32 v2, v2, v3
.LBB2_102:
	s_andn2_b64 vcc, exec, s[20:21]
	s_cbranch_vccnz .LBB2_110
; %bb.103:
	v_cmp_eq_u32_e32 vcc, 0, v0
	s_and_saveexec_b64 s[4:5], vcc
	s_cbranch_execz .LBB2_105
; %bb.104:
	v_lshlrev_b32_e32 v3, 2, v9
	ds_write_b32 v3, v2 offset:128
.LBB2_105:
	s_or_b64 exec, exec, s[4:5]
	v_add_co_u32_e32 v10, vcc, 63, v5
	v_addc_co_u32_e32 v11, vcc, 0, v8, vcc
	s_mov_b64 s[4:5], 0x7f
	v_cmp_gt_u64_e32 vcc, s[4:5], v[10:11]
	s_waitcnt lgkmcnt(0)
	s_barrier
	s_and_saveexec_b64 s[4:5], vcc
	s_cbranch_execz .LBB2_109
; %bb.106:
	v_lshlrev_b64 v[2:3], 6, v[0:1]
	v_cmp_gt_i64_e32 vcc, s[10:11], v[2:3]
	v_mov_b32_e32 v1, s3
	s_and_saveexec_b64 s[6:7], vcc
	s_cbranch_execz .LBB2_108
; %bb.107:
	v_lshlrev_b32_e32 v0, 2, v0
	ds_read_b32 v1, v0 offset:128
.LBB2_108:
	s_or_b64 exec, exec, s[6:7]
	v_and_b32_e32 v0, 64, v4
	v_add_u32_e32 v0, 64, v0
	v_xor_b32_e32 v2, 1, v4
	v_cmp_lt_i32_e32 vcc, v2, v0
	v_cndmask_b32_e32 v2, v4, v2, vcc
	v_lshlrev_b32_e32 v2, 2, v2
	s_waitcnt lgkmcnt(0)
	ds_bpermute_b32 v2, v2, v1
	v_xor_b32_e32 v3, 2, v4
	v_cmp_lt_i32_e32 vcc, v3, v0
	s_waitcnt lgkmcnt(0)
	v_add_u32_e32 v1, v2, v1
	v_cndmask_b32_e32 v2, v4, v3, vcc
	v_lshlrev_b32_e32 v2, 2, v2
	ds_bpermute_b32 v2, v2, v1
	v_xor_b32_e32 v3, 4, v4
	v_cmp_lt_i32_e32 vcc, v3, v0
	s_waitcnt lgkmcnt(0)
	v_add_u32_e32 v1, v2, v1
	v_cndmask_b32_e32 v2, v4, v3, vcc
	v_lshlrev_b32_e32 v2, 2, v2
	ds_bpermute_b32 v2, v2, v1
	v_xor_b32_e32 v3, 8, v4
	v_cmp_lt_i32_e32 vcc, v3, v0
	v_cndmask_b32_e32 v0, v4, v3, vcc
	v_lshlrev_b32_e32 v0, 2, v0
	s_waitcnt lgkmcnt(0)
	v_add_u32_e32 v1, v2, v1
	ds_bpermute_b32 v0, v0, v1
	s_waitcnt lgkmcnt(0)
	v_add_u32_e32 v2, v0, v1
.LBB2_109:
	s_or_b64 exec, exec, s[4:5]
	s_barrier
.LBB2_110:
	v_mov_b32_e32 v0, 0
	ds_read_u8 v0, v0 offset:194
	v_cndmask_b32_e64 v2, v6, v2, s[0:1]
	s_waitcnt lgkmcnt(0)
	v_and_b32_e32 v0, 1, v0
	v_cmp_eq_u32_e64 s[4:5], 1, v0
.LBB2_111:
	s_and_b64 s[4:5], s[0:1], s[4:5]
	s_branch .LBB2_114
.LBB2_112:
                                        ; implicit-def: $sgpr4_sgpr5
                                        ; implicit-def: $vgpr2
	s_cbranch_execz .LBB2_114
; %bb.113:
	v_cndmask_b32_e64 v2, v6, v7, s[0:1]
	s_andn2_b64 s[4:5], s[4:5], exec
	s_and_b64 s[0:1], s[0:1], exec
	s_or_b64 s[4:5], s[4:5], s[0:1]
.LBB2_114:
	s_and_saveexec_b64 s[0:1], s[4:5]
	s_cbranch_execz .LBB2_4
; %bb.115:
	s_ashr_i32 s3, s2, 31
	s_lshl_b64 s[0:1], s[2:3], 2
	s_add_u32 s0, s18, s0
	s_addc_u32 s1, s19, s1
	v_pk_mov_b32 v[0:1], s[0:1], s[0:1] op_sel:[0,1]
	flat_store_dword v[0:1], v2
	s_endpgm
.LBB2_116:
                                        ; implicit-def: $vgpr11
	s_branch .LBB2_8
.LBB2_117:
                                        ; implicit-def: $vgpr10
	s_branch .LBB2_45
.LBB2_118:
                                        ; implicit-def: $vgpr7
	s_branch .LBB2_82
.LBB2_119:
                                        ; implicit-def: $vgpr4
	s_branch .LBB2_27
.LBB2_120:
                                        ; implicit-def: $vgpr4
	s_branch .LBB2_64
.LBB2_121:
                                        ; implicit-def: $vgpr2
	s_branch .LBB2_101
	.section	.rodata,"a",@progbits
	.p2align	6, 0x0
	.amdhsa_kernel _ZN4RAJA6policy3hip4impl18forallp_hip_kernelINS1_8hip_execINS_17iteration_mapping6DirectENS_3hip11IndexGlobalILNS_9named_dimE0ELi256ELi0EEENS7_40AvoidDeviceMaxThreadOccupancyConcretizerINS7_34FractionOffsetOccupancyConcretizerINS_8FractionImLm1ELm1EEELln1EEEEELb1EEENS_9Iterators16numeric_iteratorIllPlEEZN8rajaperf5basic11REDUCE3_INT17runHipVariantRAJAILm256ENSM_13gpu_algorithm19block_device_helperENSM_11gpu_mapping20global_direct_helperEEEvNSM_9VariantIDEEUllE_lNS_4expt15ForallParamPackIJEEES6_SA_TnNSt9enable_ifIXaasr3std10is_base_ofINS5_10DirectBaseET4_EE5valuegtsrT5_10block_sizeLi0EEmE4typeELm256EEEvT1_T0_T2_T3_
		.amdhsa_group_segment_fixed_size 195
		.amdhsa_private_segment_fixed_size 0
		.amdhsa_kernarg_size 432
		.amdhsa_user_sgpr_count 6
		.amdhsa_user_sgpr_private_segment_buffer 1
		.amdhsa_user_sgpr_dispatch_ptr 0
		.amdhsa_user_sgpr_queue_ptr 0
		.amdhsa_user_sgpr_kernarg_segment_ptr 1
		.amdhsa_user_sgpr_dispatch_id 0
		.amdhsa_user_sgpr_flat_scratch_init 0
		.amdhsa_user_sgpr_kernarg_preload_length 0
		.amdhsa_user_sgpr_kernarg_preload_offset 0
		.amdhsa_user_sgpr_private_segment_size 0
		.amdhsa_uses_dynamic_stack 0
		.amdhsa_system_sgpr_private_segment_wavefront_offset 0
		.amdhsa_system_sgpr_workgroup_id_x 1
		.amdhsa_system_sgpr_workgroup_id_y 1
		.amdhsa_system_sgpr_workgroup_id_z 1
		.amdhsa_system_sgpr_workgroup_info 0
		.amdhsa_system_vgpr_workitem_id 2
		.amdhsa_next_free_vgpr 20
		.amdhsa_next_free_sgpr 38
		.amdhsa_accum_offset 20
		.amdhsa_reserve_vcc 1
		.amdhsa_reserve_flat_scratch 0
		.amdhsa_float_round_mode_32 0
		.amdhsa_float_round_mode_16_64 0
		.amdhsa_float_denorm_mode_32 3
		.amdhsa_float_denorm_mode_16_64 3
		.amdhsa_dx10_clamp 1
		.amdhsa_ieee_mode 1
		.amdhsa_fp16_overflow 0
		.amdhsa_tg_split 0
		.amdhsa_exception_fp_ieee_invalid_op 0
		.amdhsa_exception_fp_denorm_src 0
		.amdhsa_exception_fp_ieee_div_zero 0
		.amdhsa_exception_fp_ieee_overflow 0
		.amdhsa_exception_fp_ieee_underflow 0
		.amdhsa_exception_fp_ieee_inexact 0
		.amdhsa_exception_int_div_zero 0
	.end_amdhsa_kernel
	.section	.text._ZN4RAJA6policy3hip4impl18forallp_hip_kernelINS1_8hip_execINS_17iteration_mapping6DirectENS_3hip11IndexGlobalILNS_9named_dimE0ELi256ELi0EEENS7_40AvoidDeviceMaxThreadOccupancyConcretizerINS7_34FractionOffsetOccupancyConcretizerINS_8FractionImLm1ELm1EEELln1EEEEELb1EEENS_9Iterators16numeric_iteratorIllPlEEZN8rajaperf5basic11REDUCE3_INT17runHipVariantRAJAILm256ENSM_13gpu_algorithm19block_device_helperENSM_11gpu_mapping20global_direct_helperEEEvNSM_9VariantIDEEUllE_lNS_4expt15ForallParamPackIJEEES6_SA_TnNSt9enable_ifIXaasr3std10is_base_ofINS5_10DirectBaseET4_EE5valuegtsrT5_10block_sizeLi0EEmE4typeELm256EEEvT1_T0_T2_T3_,"axG",@progbits,_ZN4RAJA6policy3hip4impl18forallp_hip_kernelINS1_8hip_execINS_17iteration_mapping6DirectENS_3hip11IndexGlobalILNS_9named_dimE0ELi256ELi0EEENS7_40AvoidDeviceMaxThreadOccupancyConcretizerINS7_34FractionOffsetOccupancyConcretizerINS_8FractionImLm1ELm1EEELln1EEEEELb1EEENS_9Iterators16numeric_iteratorIllPlEEZN8rajaperf5basic11REDUCE3_INT17runHipVariantRAJAILm256ENSM_13gpu_algorithm19block_device_helperENSM_11gpu_mapping20global_direct_helperEEEvNSM_9VariantIDEEUllE_lNS_4expt15ForallParamPackIJEEES6_SA_TnNSt9enable_ifIXaasr3std10is_base_ofINS5_10DirectBaseET4_EE5valuegtsrT5_10block_sizeLi0EEmE4typeELm256EEEvT1_T0_T2_T3_,comdat
.Lfunc_end2:
	.size	_ZN4RAJA6policy3hip4impl18forallp_hip_kernelINS1_8hip_execINS_17iteration_mapping6DirectENS_3hip11IndexGlobalILNS_9named_dimE0ELi256ELi0EEENS7_40AvoidDeviceMaxThreadOccupancyConcretizerINS7_34FractionOffsetOccupancyConcretizerINS_8FractionImLm1ELm1EEELln1EEEEELb1EEENS_9Iterators16numeric_iteratorIllPlEEZN8rajaperf5basic11REDUCE3_INT17runHipVariantRAJAILm256ENSM_13gpu_algorithm19block_device_helperENSM_11gpu_mapping20global_direct_helperEEEvNSM_9VariantIDEEUllE_lNS_4expt15ForallParamPackIJEEES6_SA_TnNSt9enable_ifIXaasr3std10is_base_ofINS5_10DirectBaseET4_EE5valuegtsrT5_10block_sizeLi0EEmE4typeELm256EEEvT1_T0_T2_T3_, .Lfunc_end2-_ZN4RAJA6policy3hip4impl18forallp_hip_kernelINS1_8hip_execINS_17iteration_mapping6DirectENS_3hip11IndexGlobalILNS_9named_dimE0ELi256ELi0EEENS7_40AvoidDeviceMaxThreadOccupancyConcretizerINS7_34FractionOffsetOccupancyConcretizerINS_8FractionImLm1ELm1EEELln1EEEEELb1EEENS_9Iterators16numeric_iteratorIllPlEEZN8rajaperf5basic11REDUCE3_INT17runHipVariantRAJAILm256ENSM_13gpu_algorithm19block_device_helperENSM_11gpu_mapping20global_direct_helperEEEvNSM_9VariantIDEEUllE_lNS_4expt15ForallParamPackIJEEES6_SA_TnNSt9enable_ifIXaasr3std10is_base_ofINS5_10DirectBaseET4_EE5valuegtsrT5_10block_sizeLi0EEmE4typeELm256EEEvT1_T0_T2_T3_
                                        ; -- End function
	.section	.AMDGPU.csdata,"",@progbits
; Kernel info:
; codeLenInByte = 6784
; NumSgprs: 42
; NumVgprs: 20
; NumAgprs: 0
; TotalNumVgprs: 20
; ScratchSize: 0
; MemoryBound: 0
; FloatMode: 240
; IeeeMode: 1
; LDSByteSize: 195 bytes/workgroup (compile time only)
; SGPRBlocks: 5
; VGPRBlocks: 2
; NumSGPRsForWavesPerEU: 42
; NumVGPRsForWavesPerEU: 20
; AccumOffset: 20
; Occupancy: 8
; WaveLimiterHint : 1
; COMPUTE_PGM_RSRC2:SCRATCH_EN: 0
; COMPUTE_PGM_RSRC2:USER_SGPR: 6
; COMPUTE_PGM_RSRC2:TRAP_HANDLER: 0
; COMPUTE_PGM_RSRC2:TGID_X_EN: 1
; COMPUTE_PGM_RSRC2:TGID_Y_EN: 1
; COMPUTE_PGM_RSRC2:TGID_Z_EN: 1
; COMPUTE_PGM_RSRC2:TIDIG_COMP_CNT: 2
; COMPUTE_PGM_RSRC3_GFX90A:ACCUM_OFFSET: 4
; COMPUTE_PGM_RSRC3_GFX90A:TG_SPLIT: 0
	.section	.text._ZN4RAJA6policy3hip4impl18forallp_hip_kernelINS1_8hip_execINS_17iteration_mapping6DirectENS_3hip11IndexGlobalILNS_9named_dimE0ELi256ELi0EEENS7_40AvoidDeviceMaxThreadOccupancyConcretizerINS7_34FractionOffsetOccupancyConcretizerINS_8FractionImLm1ELm1EEELln1EEEEELb1EEENS_9Iterators16numeric_iteratorIllPlEEZN8rajaperf5basic11REDUCE3_INT26runHipVariantRAJANewReduceILm256ENSM_11gpu_mapping20global_direct_helperEEEvNSM_9VariantIDEEUllRNS_4expt5ValOpIiNS_9operators4plusEEERNSU_IiNSV_7minimumEEERNSU_IiNSV_7maximumEEEE_lNST_15ForallParamPackIJNST_6detail7ReducerINSW_IiiiEEiSX_EENS18_INSZ_IiiiEEiS10_EENS18_INS12_IiiiEEiS13_EEEEES6_SA_TnNSt9enable_ifIXaasr3std10is_base_ofINS5_10DirectBaseET4_EE5valuegtsrT5_10block_sizeLi0EEmE4typeELm256EEEvT1_T0_T2_T3_,"axG",@progbits,_ZN4RAJA6policy3hip4impl18forallp_hip_kernelINS1_8hip_execINS_17iteration_mapping6DirectENS_3hip11IndexGlobalILNS_9named_dimE0ELi256ELi0EEENS7_40AvoidDeviceMaxThreadOccupancyConcretizerINS7_34FractionOffsetOccupancyConcretizerINS_8FractionImLm1ELm1EEELln1EEEEELb1EEENS_9Iterators16numeric_iteratorIllPlEEZN8rajaperf5basic11REDUCE3_INT26runHipVariantRAJANewReduceILm256ENSM_11gpu_mapping20global_direct_helperEEEvNSM_9VariantIDEEUllRNS_4expt5ValOpIiNS_9operators4plusEEERNSU_IiNSV_7minimumEEERNSU_IiNSV_7maximumEEEE_lNST_15ForallParamPackIJNST_6detail7ReducerINSW_IiiiEEiSX_EENS18_INSZ_IiiiEEiS10_EENS18_INS12_IiiiEEiS13_EEEEES6_SA_TnNSt9enable_ifIXaasr3std10is_base_ofINS5_10DirectBaseET4_EE5valuegtsrT5_10block_sizeLi0EEmE4typeELm256EEEvT1_T0_T2_T3_,comdat
	.protected	_ZN4RAJA6policy3hip4impl18forallp_hip_kernelINS1_8hip_execINS_17iteration_mapping6DirectENS_3hip11IndexGlobalILNS_9named_dimE0ELi256ELi0EEENS7_40AvoidDeviceMaxThreadOccupancyConcretizerINS7_34FractionOffsetOccupancyConcretizerINS_8FractionImLm1ELm1EEELln1EEEEELb1EEENS_9Iterators16numeric_iteratorIllPlEEZN8rajaperf5basic11REDUCE3_INT26runHipVariantRAJANewReduceILm256ENSM_11gpu_mapping20global_direct_helperEEEvNSM_9VariantIDEEUllRNS_4expt5ValOpIiNS_9operators4plusEEERNSU_IiNSV_7minimumEEERNSU_IiNSV_7maximumEEEE_lNST_15ForallParamPackIJNST_6detail7ReducerINSW_IiiiEEiSX_EENS18_INSZ_IiiiEEiS10_EENS18_INS12_IiiiEEiS13_EEEEES6_SA_TnNSt9enable_ifIXaasr3std10is_base_ofINS5_10DirectBaseET4_EE5valuegtsrT5_10block_sizeLi0EEmE4typeELm256EEEvT1_T0_T2_T3_ ; -- Begin function _ZN4RAJA6policy3hip4impl18forallp_hip_kernelINS1_8hip_execINS_17iteration_mapping6DirectENS_3hip11IndexGlobalILNS_9named_dimE0ELi256ELi0EEENS7_40AvoidDeviceMaxThreadOccupancyConcretizerINS7_34FractionOffsetOccupancyConcretizerINS_8FractionImLm1ELm1EEELln1EEEEELb1EEENS_9Iterators16numeric_iteratorIllPlEEZN8rajaperf5basic11REDUCE3_INT26runHipVariantRAJANewReduceILm256ENSM_11gpu_mapping20global_direct_helperEEEvNSM_9VariantIDEEUllRNS_4expt5ValOpIiNS_9operators4plusEEERNSU_IiNSV_7minimumEEERNSU_IiNSV_7maximumEEEE_lNST_15ForallParamPackIJNST_6detail7ReducerINSW_IiiiEEiSX_EENS18_INSZ_IiiiEEiS10_EENS18_INS12_IiiiEEiS13_EEEEES6_SA_TnNSt9enable_ifIXaasr3std10is_base_ofINS5_10DirectBaseET4_EE5valuegtsrT5_10block_sizeLi0EEmE4typeELm256EEEvT1_T0_T2_T3_
	.globl	_ZN4RAJA6policy3hip4impl18forallp_hip_kernelINS1_8hip_execINS_17iteration_mapping6DirectENS_3hip11IndexGlobalILNS_9named_dimE0ELi256ELi0EEENS7_40AvoidDeviceMaxThreadOccupancyConcretizerINS7_34FractionOffsetOccupancyConcretizerINS_8FractionImLm1ELm1EEELln1EEEEELb1EEENS_9Iterators16numeric_iteratorIllPlEEZN8rajaperf5basic11REDUCE3_INT26runHipVariantRAJANewReduceILm256ENSM_11gpu_mapping20global_direct_helperEEEvNSM_9VariantIDEEUllRNS_4expt5ValOpIiNS_9operators4plusEEERNSU_IiNSV_7minimumEEERNSU_IiNSV_7maximumEEEE_lNST_15ForallParamPackIJNST_6detail7ReducerINSW_IiiiEEiSX_EENS18_INSZ_IiiiEEiS10_EENS18_INS12_IiiiEEiS13_EEEEES6_SA_TnNSt9enable_ifIXaasr3std10is_base_ofINS5_10DirectBaseET4_EE5valuegtsrT5_10block_sizeLi0EEmE4typeELm256EEEvT1_T0_T2_T3_
	.p2align	8
	.type	_ZN4RAJA6policy3hip4impl18forallp_hip_kernelINS1_8hip_execINS_17iteration_mapping6DirectENS_3hip11IndexGlobalILNS_9named_dimE0ELi256ELi0EEENS7_40AvoidDeviceMaxThreadOccupancyConcretizerINS7_34FractionOffsetOccupancyConcretizerINS_8FractionImLm1ELm1EEELln1EEEEELb1EEENS_9Iterators16numeric_iteratorIllPlEEZN8rajaperf5basic11REDUCE3_INT26runHipVariantRAJANewReduceILm256ENSM_11gpu_mapping20global_direct_helperEEEvNSM_9VariantIDEEUllRNS_4expt5ValOpIiNS_9operators4plusEEERNSU_IiNSV_7minimumEEERNSU_IiNSV_7maximumEEEE_lNST_15ForallParamPackIJNST_6detail7ReducerINSW_IiiiEEiSX_EENS18_INSZ_IiiiEEiS10_EENS18_INS12_IiiiEEiS13_EEEEES6_SA_TnNSt9enable_ifIXaasr3std10is_base_ofINS5_10DirectBaseET4_EE5valuegtsrT5_10block_sizeLi0EEmE4typeELm256EEEvT1_T0_T2_T3_,@function
_ZN4RAJA6policy3hip4impl18forallp_hip_kernelINS1_8hip_execINS_17iteration_mapping6DirectENS_3hip11IndexGlobalILNS_9named_dimE0ELi256ELi0EEENS7_40AvoidDeviceMaxThreadOccupancyConcretizerINS7_34FractionOffsetOccupancyConcretizerINS_8FractionImLm1ELm1EEELln1EEEEELb1EEENS_9Iterators16numeric_iteratorIllPlEEZN8rajaperf5basic11REDUCE3_INT26runHipVariantRAJANewReduceILm256ENSM_11gpu_mapping20global_direct_helperEEEvNSM_9VariantIDEEUllRNS_4expt5ValOpIiNS_9operators4plusEEERNSU_IiNSV_7minimumEEERNSU_IiNSV_7maximumEEEE_lNST_15ForallParamPackIJNST_6detail7ReducerINSW_IiiiEEiSX_EENS18_INSZ_IiiiEEiS10_EENS18_INS12_IiiiEEiS13_EEEEES6_SA_TnNSt9enable_ifIXaasr3std10is_base_ofINS5_10DirectBaseET4_EE5valuegtsrT5_10block_sizeLi0EEmE4typeELm256EEEvT1_T0_T2_T3_: ; @_ZN4RAJA6policy3hip4impl18forallp_hip_kernelINS1_8hip_execINS_17iteration_mapping6DirectENS_3hip11IndexGlobalILNS_9named_dimE0ELi256ELi0EEENS7_40AvoidDeviceMaxThreadOccupancyConcretizerINS7_34FractionOffsetOccupancyConcretizerINS_8FractionImLm1ELm1EEELln1EEEEELb1EEENS_9Iterators16numeric_iteratorIllPlEEZN8rajaperf5basic11REDUCE3_INT26runHipVariantRAJANewReduceILm256ENSM_11gpu_mapping20global_direct_helperEEEvNSM_9VariantIDEEUllRNS_4expt5ValOpIiNS_9operators4plusEEERNSU_IiNSV_7minimumEEERNSU_IiNSV_7maximumEEEE_lNST_15ForallParamPackIJNST_6detail7ReducerINSW_IiiiEEiSX_EENS18_INSZ_IiiiEEiS10_EENS18_INS12_IiiiEEiS13_EEEEES6_SA_TnNSt9enable_ifIXaasr3std10is_base_ofINS5_10DirectBaseET4_EE5valuegtsrT5_10block_sizeLi0EEmE4typeELm256EEEvT1_T0_T2_T3_
; %bb.0:
	s_load_dwordx2 s[0:1], s[4:5], 0x10
	s_load_dword s2, s[4:5], 0x18
	s_load_dword s3, s[4:5], 0x40
	;; [unrolled: 1-line block ×3, first 2 shown]
	s_mov_b32 s7, 0
	v_and_b32_e32 v2, 0x3ff, v0
	s_lshl_b64 s[10:11], s[6:7], 8
	v_or_b32_e32 v4, s10, v2
	v_mov_b32_e32 v5, s11
	v_mov_b32_e32 v3, 0
	s_waitcnt lgkmcnt(0)
	v_cmp_gt_i64_e32 vcc, s[0:1], v[4:5]
	v_mov_b32_e32 v1, s2
	v_mov_b32_e32 v17, s3
	;; [unrolled: 1-line block ×3, first 2 shown]
	s_and_saveexec_b64 s[0:1], vcc
	s_cbranch_execz .LBB3_2
; %bb.1:
	s_load_dwordx4 s[12:15], s[4:5], 0x0
	v_lshlrev_b64 v[4:5], 2, v[4:5]
	s_waitcnt lgkmcnt(0)
	s_lshl_b64 s[10:11], s[14:15], 2
	s_add_u32 s7, s10, s12
	s_addc_u32 s9, s11, s13
	v_mov_b32_e32 v1, s9
	v_add_co_u32_e32 v4, vcc, s7, v4
	v_addc_co_u32_e32 v5, vcc, v1, v5, vcc
	global_load_dword v4, v[4:5], off
	s_waitcnt vmcnt(0)
	v_add_u32_e32 v1, s2, v4
	v_min_i32_e32 v17, s3, v4
	v_max_i32_e32 v14, s8, v4
.LBB3_2:
	s_or_b64 exec, exec, s[0:1]
	v_mbcnt_lo_u32_b32 v4, -1, 0
	v_mbcnt_hi_u32_b32 v13, -1, v4
	v_and_b32_e32 v4, 64, v13
	v_add_u32_e32 v4, 64, v4
	v_xor_b32_e32 v5, 1, v13
	v_cmp_lt_i32_e32 vcc, v5, v4
	v_cndmask_b32_e32 v5, v13, v5, vcc
	v_lshlrev_b32_e32 v6, 2, v5
	ds_bpermute_b32 v5, v6, v1
	v_xor_b32_e32 v7, 2, v13
	v_cmp_lt_i32_e32 vcc, v7, v4
	v_xor_b32_e32 v8, 4, v13
	v_xor_b32_e32 v9, 8, v13
	s_waitcnt lgkmcnt(0)
	v_add_u32_e32 v1, v5, v1
	v_cndmask_b32_e32 v5, v13, v7, vcc
	v_lshlrev_b32_e32 v7, 2, v5
	ds_bpermute_b32 v5, v7, v1
	v_cmp_lt_i32_e32 vcc, v8, v4
	v_xor_b32_e32 v10, 16, v13
	s_load_dwordx4 s[20:23], s[4:5], 0x28
	s_load_dwordx2 s[26:27], s[4:5], 0x38
	s_load_dwordx2 s[10:11], s[4:5], 0x60
	s_load_dwordx4 s[16:19], s[4:5], 0x50
	s_load_dwordx2 s[24:25], s[4:5], 0x88
	s_load_dwordx4 s[12:15], s[4:5], 0x78
	s_waitcnt lgkmcnt(0)
	v_add_u32_e32 v1, v5, v1
	v_cndmask_b32_e32 v5, v13, v8, vcc
	v_lshlrev_b32_e32 v8, 2, v5
	ds_bpermute_b32 v5, v8, v1
	v_cmp_lt_i32_e32 vcc, v9, v4
	s_add_u32 s8, s4, 0x90
	s_addc_u32 s9, s5, 0
	s_waitcnt lgkmcnt(0)
	v_add_u32_e32 v1, v5, v1
	v_cndmask_b32_e32 v5, v13, v9, vcc
	v_lshlrev_b32_e32 v9, 2, v5
	ds_bpermute_b32 v5, v9, v1
	v_cmp_lt_i32_e32 vcc, v10, v4
	s_waitcnt lgkmcnt(0)
	v_add_u32_e32 v1, v5, v1
	v_cndmask_b32_e32 v5, v13, v10, vcc
	v_lshlrev_b32_e32 v11, 2, v5
	ds_bpermute_b32 v5, v11, v1
	v_and_b32_e32 v10, 63, v2
	v_cmp_eq_u32_e64 s[0:1], 0, v10
	s_waitcnt lgkmcnt(0)
	v_add_u32_e32 v1, v5, v1
	v_xor_b32_e32 v5, 32, v13
	v_cmp_lt_i32_e32 vcc, v5, v4
	v_cndmask_b32_e32 v4, v13, v5, vcc
	v_lshlrev_b32_e32 v12, 2, v4
	ds_bpermute_b32 v4, v12, v1
	s_waitcnt lgkmcnt(0)
	v_add_u32_e32 v1, v4, v1
	s_and_saveexec_b64 s[2:3], s[0:1]
	s_cbranch_execz .LBB3_4
; %bb.3:
	v_lshrrev_b32_e32 v4, 4, v2
	ds_write_b32 v4, v1 offset:256
.LBB3_4:
	s_or_b64 exec, exec, s[2:3]
	s_load_dword s33, s[4:5], 0x90
	v_cmp_gt_u32_e64 s[2:3], 64, v2
	s_waitcnt lgkmcnt(0)
	s_barrier
	s_and_saveexec_b64 s[4:5], s[2:3]
	s_cbranch_execz .LBB3_8
; %bb.5:
	v_cmp_gt_u32_e32 vcc, 4, v10
	v_mov_b32_e32 v1, 0
	s_and_saveexec_b64 s[28:29], vcc
	s_cbranch_execz .LBB3_7
; %bb.6:
	v_lshlrev_b32_e32 v1, 2, v10
	ds_read_b32 v1, v1 offset:256
.LBB3_7:
	s_or_b64 exec, exec, s[28:29]
	s_waitcnt lgkmcnt(0)
	ds_bpermute_b32 v4, v6, v1
	s_waitcnt lgkmcnt(0)
	v_add_u32_e32 v1, v4, v1
	ds_bpermute_b32 v4, v7, v1
	s_waitcnt lgkmcnt(0)
	v_add_u32_e32 v1, v4, v1
	;; [unrolled: 3-line block ×4, first 2 shown]
.LBB3_8:
	s_or_b64 exec, exec, s[4:5]
	v_cmp_eq_u32_e64 s[4:5], 0, v2
	v_mov_b32_e32 v4, 0
	v_mov_b32_e32 v5, 0
	s_barrier
	s_and_saveexec_b64 s[28:29], s[4:5]
	s_cbranch_execz .LBB3_10
; %bb.9:
	s_ashr_i32 s7, s6, 31
	s_add_i32 s34, s33, -1
	s_lshl_b64 s[30:31], s[6:7], 2
	s_add_u32 s30, s22, s30
	v_mov_b32_e32 v5, 0
	s_addc_u32 s31, s23, s31
	global_store_dword v5, v1, s[30:31]
	v_mov_b32_e32 v1, s34
	s_waitcnt vmcnt(0)
	buffer_wbinvl1_vol
	global_atomic_inc v1, v5, v1, s[26:27] glc
	s_waitcnt vmcnt(0)
	v_cmp_eq_u32_e32 vcc, s34, v1
	v_cndmask_b32_e64 v5, 0, 1, vcc
.LBB3_10:
	s_or_b64 exec, exec, s[28:29]
	global_load_dword v1, v4, s[8:9] offset:14
	s_waitcnt vmcnt(0)
	v_readfirstlane_b32 s7, v1
	s_lshr_b32 s26, s7, 16
	s_and_b32 s28, s7, 0xffff
	s_cmp_lt_u32 s6, s33
	s_cselect_b32 s7, 12, 18
	s_add_u32 s8, s8, s7
	s_addc_u32 s9, s9, 0
	global_load_ushort v15, v4, s[8:9]
	v_or_b32_dpp v1, v5, v5 row_shl:1 row_mask:0xf bank_mask:0xf bound_ctrl:1
	v_bfe_u32 v4, v0, 10, 10
	v_bfe_u32 v0, v0, 20, 10
	v_or_b32_dpp v1, v1, v1 row_shl:2 row_mask:0xf bank_mask:0xf bound_ctrl:1
	v_mad_u32_u24 v16, v0, s28, v4
	s_waitcnt vmcnt(0)
	v_readfirstlane_b32 s9, v15
	v_or_b32_dpp v1, v1, v1 row_shl:4 row_mask:0xf bank_mask:0xf bound_ctrl:1
	s_mul_i32 s9, s28, s9
	s_bfe_i32 s9, s9, 0x180000
	v_or_b32_dpp v1, v1, v1 row_shl:8 row_mask:0xf bank_mask:0xf bound_ctrl:1
	s_mul_i32 s9, s9, s26
	s_add_i32 s9, s9, 63
	v_mov_b32_dpp v5, v1 wave_shl:1 row_mask:0xf bank_mask:0xf bound_ctrl:1
	s_bitcmp1_b32 exec_hi, 0
	s_nop 0
	v_or_b32_dpp v1, v5, v1 row_mirror row_mask:0xf bank_mask:0xf bound_ctrl:1
	v_readlane_b32 s7, v1, 32
	v_readlane_b32 s8, v1, 0
	s_cselect_b32 s7, s7, 0
	s_andn2_b32 s9, s9, 63
	s_or_b32 s7, s7, s8
	s_cmp_lg_u32 s9, 64
	v_mov_b32_e32 v1, s7
	s_cselect_b64 s[26:27], -1, 0
	s_cmp_eq_u32 s9, 64
	s_cbranch_scc1 .LBB3_17
; %bb.11:
	v_mad_u64_u32 v[0:1], s[8:9], v16, v15, v[2:3]
	v_lshrrev_b32_e32 v1, 6, v0
	v_or_b32_e32 v1, v1, v13
	v_cmp_eq_u32_e32 vcc, 0, v1
	s_and_saveexec_b64 s[8:9], vcc
	s_cbranch_execz .LBB3_13
; %bb.12:
	v_mov_b32_e32 v1, 0
	v_mov_b32_e32 v4, s7
	ds_write_b32 v1, v4
.LBB3_13:
	s_or_b64 exec, exec, s[8:9]
	v_cmp_eq_u32_e32 vcc, 0, v13
	v_cmp_lt_u32_e64 s[8:9], 63, v0
	s_and_b64 s[28:29], vcc, s[8:9]
	s_waitcnt lgkmcnt(0)
	s_barrier
	s_and_saveexec_b64 s[8:9], s[28:29]
	s_cbranch_execz .LBB3_16
; %bb.14:
	v_mbcnt_lo_u32_b32 v0, exec_lo, 0
	v_mbcnt_hi_u32_b32 v0, exec_hi, v0
	v_cmp_eq_u32_e32 vcc, 0, v0
	s_and_b64 exec, exec, vcc
	s_cbranch_execz .LBB3_16
; %bb.15:
	v_mov_b32_e32 v0, 0
	v_mov_b32_e32 v1, s7
	ds_or_b32 v0, v1
.LBB3_16:
	s_or_b64 exec, exec, s[8:9]
	v_mov_b32_e32 v0, 0
	s_waitcnt lgkmcnt(0)
	s_barrier
	ds_read_b32 v1, v0
	s_waitcnt lgkmcnt(0)
	s_barrier
.LBB3_17:
	v_cmp_eq_u32_e32 vcc, 0, v1
	v_cmp_gt_i32_e64 s[8:9], s33, v2
	s_cbranch_vccnz .LBB3_39
; %bb.18:
	v_mov_b32_e32 v19, 0
	buffer_wbinvl1_vol
	s_and_saveexec_b64 s[28:29], s[8:9]
	s_cbranch_execz .LBB3_30
; %bb.19:
	v_xad_u32 v1, v2, -1, s33
	s_movk_i32 s7, 0xff
	v_cmp_lt_u32_e32 vcc, s7, v1
	s_mov_b64 s[30:31], -1
	v_mov_b32_e32 v18, 0
	v_mov_b32_e32 v0, v2
	v_pk_mov_b32 v[4:5], v[2:3], v[2:3] op_sel:[0,1]
                                        ; implicit-def: $vgpr19
	s_and_saveexec_b64 s[8:9], vcc
	s_cbranch_execz .LBB3_25
; %bb.20:
	v_lshrrev_b32_e32 v0, 8, v1
	v_add_u32_e32 v18, 1, v0
	v_and_b32_e32 v20, 0x1fffffe, v18
	v_add_u32_e32 v1, 0x100, v2
	v_mov_b32_e32 v0, v2
	s_mov_b64 s[30:31], 0
	v_mov_b32_e32 v5, 0
	v_mov_b32_e32 v19, s23
	;; [unrolled: 1-line block ×5, first 2 shown]
.LBB3_21:                               ; =>This Inner Loop Header: Depth=1
	v_mov_b32_e32 v4, v0
	v_lshlrev_b64 v[24:25], 2, v[4:5]
	v_mov_b32_e32 v4, v1
	v_add_co_u32_e32 v24, vcc, s22, v24
	v_addc_co_u32_e32 v25, vcc, v19, v25, vcc
	v_lshlrev_b64 v[26:27], 2, v[4:5]
	v_add_co_u32_e32 v26, vcc, s22, v26
	v_addc_co_u32_e32 v27, vcc, v19, v27, vcc
	global_load_dword v4, v[24:25], off
	global_load_dword v28, v[26:27], off
	v_add_u32_e32 v22, -2, v22
	v_cmp_eq_u32_e32 vcc, 0, v22
	v_add_u32_e32 v0, 0x200, v0
	v_add_u32_e32 v1, 0x200, v1
	s_or_b64 s[30:31], vcc, s[30:31]
	s_waitcnt vmcnt(1)
	v_add_u32_e32 v21, v4, v21
	s_waitcnt vmcnt(0)
	v_add_u32_e32 v23, v28, v23
	s_andn2_b64 exec, exec, s[30:31]
	s_cbranch_execnz .LBB3_21
; %bb.22:
	s_or_b64 exec, exec, s[30:31]
	v_add_u32_e32 v19, v21, v23
	v_cmp_ne_u32_e32 vcc, v18, v20
	s_mov_b64 s[30:31], 0
	v_mov_b32_e32 v18, 0
                                        ; implicit-def: $vgpr0
                                        ; implicit-def: $vgpr4_vgpr5
	s_and_saveexec_b64 s[34:35], vcc
	s_xor_b64 s[34:35], exec, s[34:35]
; %bb.23:
	v_lshl_add_u32 v0, v20, 8, v2
	v_mov_b32_e32 v1, 0
	s_mov_b64 s[30:31], exec
	v_mov_b32_e32 v18, v19
	v_pk_mov_b32 v[4:5], v[0:1], v[0:1] op_sel:[0,1]
; %bb.24:
	s_or_b64 exec, exec, s[34:35]
	s_orn2_b64 s[30:31], s[30:31], exec
.LBB3_25:
	s_or_b64 exec, exec, s[8:9]
	s_and_saveexec_b64 s[8:9], s[30:31]
	s_cbranch_execz .LBB3_29
; %bb.26:
	v_lshlrev_b64 v[4:5], 2, v[4:5]
	v_mov_b32_e32 v1, s23
	v_add_co_u32_e32 v4, vcc, s22, v4
	v_addc_co_u32_e32 v5, vcc, v1, v5, vcc
	s_mov_b64 s[22:23], 0
.LBB3_27:                               ; =>This Inner Loop Header: Depth=1
	global_load_dword v1, v[4:5], off
	v_add_co_u32_e32 v4, vcc, 0x400, v4
	v_add_u32_e32 v0, 0x100, v0
	v_addc_co_u32_e32 v5, vcc, 0, v5, vcc
	v_cmp_le_i32_e32 vcc, s33, v0
	s_or_b64 s[22:23], vcc, s[22:23]
	s_waitcnt vmcnt(0)
	v_add_u32_e32 v18, v1, v18
	s_andn2_b64 exec, exec, s[22:23]
	s_cbranch_execnz .LBB3_27
; %bb.28:
	s_or_b64 exec, exec, s[22:23]
	v_mov_b32_e32 v19, v18
.LBB3_29:
	s_or_b64 exec, exec, s[8:9]
.LBB3_30:
	s_or_b64 exec, exec, s[28:29]
	ds_bpermute_b32 v0, v6, v19
	s_waitcnt lgkmcnt(0)
	v_add_u32_e32 v0, v0, v19
	ds_bpermute_b32 v1, v7, v0
	s_waitcnt lgkmcnt(0)
	v_add_u32_e32 v0, v1, v0
	;; [unrolled: 3-line block ×6, first 2 shown]
	s_and_saveexec_b64 s[8:9], s[0:1]
	s_cbranch_execz .LBB3_32
; %bb.31:
	v_lshrrev_b32_e32 v1, 4, v2
	ds_write_b32 v1, v0 offset:256
.LBB3_32:
	s_or_b64 exec, exec, s[8:9]
	s_waitcnt lgkmcnt(0)
	s_barrier
	s_and_saveexec_b64 s[8:9], s[2:3]
	s_cbranch_execz .LBB3_36
; %bb.33:
	v_cmp_gt_u32_e32 vcc, 4, v10
	v_mov_b32_e32 v0, 0
	s_and_saveexec_b64 s[22:23], vcc
	s_cbranch_execz .LBB3_35
; %bb.34:
	v_lshlrev_b32_e32 v0, 2, v10
	ds_read_b32 v0, v0 offset:256
.LBB3_35:
	s_or_b64 exec, exec, s[22:23]
	s_waitcnt lgkmcnt(0)
	ds_bpermute_b32 v1, v6, v0
	s_waitcnt lgkmcnt(0)
	v_add_u32_e32 v0, v1, v0
	ds_bpermute_b32 v1, v7, v0
	s_waitcnt lgkmcnt(0)
	v_add_u32_e32 v0, v1, v0
	;; [unrolled: 3-line block ×4, first 2 shown]
.LBB3_36:
	s_or_b64 exec, exec, s[8:9]
	s_barrier
	s_and_saveexec_b64 s[8:9], s[4:5]
	s_cbranch_execz .LBB3_38
; %bb.37:
	v_mov_b32_e32 v1, 0
	global_store_dword v1, v0, s[20:21]
.LBB3_38:
	s_or_b64 exec, exec, s[8:9]
.LBB3_39:
	ds_bpermute_b32 v0, v6, v17
	s_waitcnt lgkmcnt(0)
	v_min_i32_e32 v0, v0, v17
	ds_bpermute_b32 v1, v7, v0
	s_waitcnt lgkmcnt(0)
	v_min_i32_e32 v0, v1, v0
	;; [unrolled: 3-line block ×6, first 2 shown]
	s_and_saveexec_b64 s[8:9], s[0:1]
	s_cbranch_execz .LBB3_41
; %bb.40:
	v_lshrrev_b32_e32 v1, 4, v2
	ds_write_b32 v1, v0 offset:384
.LBB3_41:
	s_or_b64 exec, exec, s[8:9]
	s_waitcnt lgkmcnt(0)
	s_barrier
	s_and_saveexec_b64 s[8:9], s[2:3]
	s_cbranch_execz .LBB3_45
; %bb.42:
	v_cmp_gt_u32_e32 vcc, 4, v10
	v_bfrev_b32_e32 v0, -2
	s_and_saveexec_b64 s[20:21], vcc
	s_cbranch_execz .LBB3_44
; %bb.43:
	v_lshlrev_b32_e32 v0, 2, v10
	ds_read_b32 v0, v0 offset:384
.LBB3_44:
	s_or_b64 exec, exec, s[20:21]
	s_waitcnt lgkmcnt(0)
	ds_bpermute_b32 v1, v6, v0
	s_waitcnt lgkmcnt(0)
	v_min_i32_e32 v0, v1, v0
	ds_bpermute_b32 v1, v7, v0
	s_waitcnt lgkmcnt(0)
	v_min_i32_e32 v0, v1, v0
	;; [unrolled: 3-line block ×4, first 2 shown]
.LBB3_45:
	s_or_b64 exec, exec, s[8:9]
	v_mov_b32_e32 v1, 0
	s_barrier
	s_and_saveexec_b64 s[8:9], s[4:5]
	s_cbranch_execz .LBB3_47
; %bb.46:
	s_ashr_i32 s7, s6, 31
	s_add_i32 s22, s33, -1
	s_lshl_b64 s[20:21], s[6:7], 2
	s_add_u32 s20, s18, s20
	v_mov_b32_e32 v1, 0
	s_addc_u32 s21, s19, s21
	global_store_dword v1, v0, s[20:21]
	v_mov_b32_e32 v0, s22
	s_waitcnt vmcnt(0)
	buffer_wbinvl1_vol
	global_atomic_inc v0, v1, v0, s[10:11] glc
	s_waitcnt vmcnt(0)
	v_cmp_eq_u32_e32 vcc, s22, v0
	v_cndmask_b32_e64 v1, 0, 1, vcc
.LBB3_47:
	s_or_b64 exec, exec, s[8:9]
	s_nop 0
	v_or_b32_dpp v0, v1, v1 row_shl:1 row_mask:0xf bank_mask:0xf bound_ctrl:1
	s_bitcmp1_b32 exec_hi, 0
	s_nop 0
	v_or_b32_dpp v0, v0, v0 row_shl:2 row_mask:0xf bank_mask:0xf bound_ctrl:1
	s_nop 1
	v_or_b32_dpp v0, v0, v0 row_shl:4 row_mask:0xf bank_mask:0xf bound_ctrl:1
	;; [unrolled: 2-line block ×3, first 2 shown]
	s_nop 1
	v_mov_b32_dpp v1, v0 wave_shl:1 row_mask:0xf bank_mask:0xf bound_ctrl:1
	s_nop 1
	v_or_b32_dpp v0, v1, v0 row_mirror row_mask:0xf bank_mask:0xf bound_ctrl:1
	v_readlane_b32 s7, v0, 32
	s_cselect_b32 s7, s7, 0
	v_readlane_b32 s8, v0, 0
	s_or_b32 s7, s7, s8
	v_cndmask_b32_e64 v0, 0, 1, s[26:27]
	v_cmp_ne_u32_e64 s[8:9], 1, v0
	s_andn2_b64 vcc, exec, s[26:27]
	v_mov_b32_e32 v0, s7
	s_cbranch_vccnz .LBB3_54
; %bb.48:
	v_mad_u64_u32 v[0:1], s[10:11], v16, v15, v[2:3]
	v_lshrrev_b32_e32 v1, 6, v0
	v_or_b32_e32 v1, v1, v13
	v_cmp_eq_u32_e32 vcc, 0, v1
	s_and_saveexec_b64 s[10:11], vcc
	s_cbranch_execz .LBB3_50
; %bb.49:
	v_mov_b32_e32 v1, 0
	v_mov_b32_e32 v4, s7
	ds_write_b32 v1, v4
.LBB3_50:
	s_or_b64 exec, exec, s[10:11]
	v_cmp_eq_u32_e32 vcc, 0, v13
	v_cmp_lt_u32_e64 s[10:11], 63, v0
	s_and_b64 s[20:21], vcc, s[10:11]
	s_waitcnt lgkmcnt(0)
	s_barrier
	s_and_saveexec_b64 s[10:11], s[20:21]
	s_cbranch_execz .LBB3_53
; %bb.51:
	v_mbcnt_lo_u32_b32 v0, exec_lo, 0
	v_mbcnt_hi_u32_b32 v0, exec_hi, v0
	v_cmp_eq_u32_e32 vcc, 0, v0
	s_and_b64 exec, exec, vcc
	s_cbranch_execz .LBB3_53
; %bb.52:
	v_mov_b32_e32 v0, 0
	v_mov_b32_e32 v1, s7
	ds_or_b32 v0, v1
.LBB3_53:
	s_or_b64 exec, exec, s[10:11]
	v_mov_b32_e32 v0, 0
	s_waitcnt lgkmcnt(0)
	s_barrier
	ds_read_b32 v0, v0
	s_waitcnt lgkmcnt(0)
	s_barrier
.LBB3_54:
	v_cmp_eq_u32_e32 vcc, 0, v0
	s_cbranch_vccnz .LBB3_76
; %bb.55:
	v_cmp_gt_i32_e32 vcc, s33, v2
	v_bfrev_b32_e32 v18, -2
	s_waitcnt vmcnt(0)
	buffer_wbinvl1_vol
	s_and_saveexec_b64 s[10:11], vcc
	s_cbranch_execz .LBB3_67
; %bb.56:
	v_xad_u32 v1, v2, -1, s33
	s_movk_i32 s7, 0xff
	v_cmp_lt_u32_e32 vcc, s7, v1
	s_mov_b64 s[22:23], -1
	v_bfrev_b32_e32 v17, -2
	v_mov_b32_e32 v0, v2
	v_pk_mov_b32 v[4:5], v[2:3], v[2:3] op_sel:[0,1]
                                        ; implicit-def: $vgpr18
	s_and_saveexec_b64 s[20:21], vcc
	s_cbranch_execz .LBB3_62
; %bb.57:
	v_lshrrev_b32_e32 v0, 8, v1
	v_add_u32_e32 v17, 1, v0
	v_and_b32_e32 v19, 0x1fffffe, v17
	v_add_u32_e32 v1, 0x100, v2
	v_mov_b32_e32 v0, v2
	s_mov_b64 s[22:23], 0
	v_bfrev_b32_e32 v18, -2
	v_mov_b32_e32 v20, s19
	v_mov_b32_e32 v5, 0
	v_mov_b32_e32 v21, v19
	v_bfrev_b32_e32 v22, -2
.LBB3_58:                               ; =>This Inner Loop Header: Depth=1
	v_mov_b32_e32 v4, v0
	v_lshlrev_b64 v[24:25], 2, v[4:5]
	v_mov_b32_e32 v4, v1
	v_add_co_u32_e32 v24, vcc, s18, v24
	v_addc_co_u32_e32 v25, vcc, v20, v25, vcc
	v_lshlrev_b64 v[26:27], 2, v[4:5]
	v_add_co_u32_e32 v26, vcc, s18, v26
	v_addc_co_u32_e32 v27, vcc, v20, v27, vcc
	global_load_dword v4, v[24:25], off
	global_load_dword v23, v[26:27], off
	v_add_u32_e32 v21, -2, v21
	v_cmp_eq_u32_e32 vcc, 0, v21
	v_add_u32_e32 v0, 0x200, v0
	v_add_u32_e32 v1, 0x200, v1
	s_or_b64 s[22:23], vcc, s[22:23]
	s_waitcnt vmcnt(1)
	v_min_i32_e32 v18, v4, v18
	s_waitcnt vmcnt(0)
	v_min_i32_e32 v22, v23, v22
	s_andn2_b64 exec, exec, s[22:23]
	s_cbranch_execnz .LBB3_58
; %bb.59:
	s_or_b64 exec, exec, s[22:23]
	v_min_i32_e32 v18, v18, v22
	v_cmp_ne_u32_e32 vcc, v17, v19
	s_mov_b64 s[22:23], 0
	v_bfrev_b32_e32 v17, -2
                                        ; implicit-def: $vgpr0
                                        ; implicit-def: $vgpr4_vgpr5
	s_and_saveexec_b64 s[26:27], vcc
	s_xor_b64 s[26:27], exec, s[26:27]
; %bb.60:
	v_lshl_add_u32 v0, v19, 8, v2
	v_mov_b32_e32 v1, 0
	s_mov_b64 s[22:23], exec
	v_mov_b32_e32 v17, v18
	v_pk_mov_b32 v[4:5], v[0:1], v[0:1] op_sel:[0,1]
; %bb.61:
	s_or_b64 exec, exec, s[26:27]
	s_orn2_b64 s[22:23], s[22:23], exec
.LBB3_62:
	s_or_b64 exec, exec, s[20:21]
	s_and_saveexec_b64 s[20:21], s[22:23]
	s_cbranch_execz .LBB3_66
; %bb.63:
	v_lshlrev_b64 v[4:5], 2, v[4:5]
	v_mov_b32_e32 v1, s19
	v_add_co_u32_e32 v4, vcc, s18, v4
	v_addc_co_u32_e32 v5, vcc, v1, v5, vcc
	s_mov_b64 s[18:19], 0
.LBB3_64:                               ; =>This Inner Loop Header: Depth=1
	global_load_dword v1, v[4:5], off
	v_add_co_u32_e32 v4, vcc, 0x400, v4
	v_add_u32_e32 v0, 0x100, v0
	v_addc_co_u32_e32 v5, vcc, 0, v5, vcc
	v_cmp_le_i32_e32 vcc, s33, v0
	s_or_b64 s[18:19], vcc, s[18:19]
	s_waitcnt vmcnt(0)
	v_min_i32_e32 v17, v1, v17
	s_andn2_b64 exec, exec, s[18:19]
	s_cbranch_execnz .LBB3_64
; %bb.65:
	s_or_b64 exec, exec, s[18:19]
	v_mov_b32_e32 v18, v17
.LBB3_66:
	s_or_b64 exec, exec, s[20:21]
.LBB3_67:
	s_or_b64 exec, exec, s[10:11]
	ds_bpermute_b32 v0, v6, v18
	s_waitcnt lgkmcnt(0)
	v_min_i32_e32 v0, v0, v18
	ds_bpermute_b32 v1, v7, v0
	s_waitcnt lgkmcnt(0)
	v_min_i32_e32 v0, v1, v0
	;; [unrolled: 3-line block ×6, first 2 shown]
	s_and_saveexec_b64 s[10:11], s[0:1]
	s_cbranch_execz .LBB3_69
; %bb.68:
	v_lshrrev_b32_e32 v1, 4, v2
	ds_write_b32 v1, v0 offset:384
.LBB3_69:
	s_or_b64 exec, exec, s[10:11]
	s_waitcnt lgkmcnt(0)
	s_barrier
	s_and_saveexec_b64 s[10:11], s[2:3]
	s_cbranch_execz .LBB3_73
; %bb.70:
	v_cmp_gt_u32_e32 vcc, 4, v10
	v_bfrev_b32_e32 v0, -2
	s_and_saveexec_b64 s[18:19], vcc
	s_cbranch_execz .LBB3_72
; %bb.71:
	v_lshlrev_b32_e32 v0, 2, v10
	ds_read_b32 v0, v0 offset:384
.LBB3_72:
	s_or_b64 exec, exec, s[18:19]
	s_waitcnt lgkmcnt(0)
	ds_bpermute_b32 v1, v6, v0
	s_waitcnt lgkmcnt(0)
	v_min_i32_e32 v0, v1, v0
	ds_bpermute_b32 v1, v7, v0
	s_waitcnt lgkmcnt(0)
	v_min_i32_e32 v0, v1, v0
	ds_bpermute_b32 v1, v8, v0
	s_waitcnt lgkmcnt(0)
	v_min_i32_e32 v0, v1, v0
	ds_bpermute_b32 v1, v9, v0
	s_waitcnt lgkmcnt(0)
	v_min_i32_e32 v0, v1, v0
.LBB3_73:
	s_or_b64 exec, exec, s[10:11]
	s_barrier
	s_and_saveexec_b64 s[10:11], s[4:5]
	s_cbranch_execz .LBB3_75
; %bb.74:
	v_mov_b32_e32 v1, 0
	global_store_dword v1, v0, s[16:17]
.LBB3_75:
	s_or_b64 exec, exec, s[10:11]
.LBB3_76:
	ds_bpermute_b32 v0, v6, v14
	s_waitcnt lgkmcnt(0)
	v_max_i32_e32 v0, v14, v0
	ds_bpermute_b32 v1, v7, v0
	s_waitcnt lgkmcnt(0)
	v_max_i32_e32 v0, v0, v1
	;; [unrolled: 3-line block ×6, first 2 shown]
	s_and_saveexec_b64 s[10:11], s[0:1]
	s_cbranch_execz .LBB3_78
; %bb.77:
	v_lshrrev_b32_e32 v1, 4, v2
	ds_write_b32 v1, v0 offset:320
.LBB3_78:
	s_or_b64 exec, exec, s[10:11]
	s_waitcnt lgkmcnt(0)
	s_barrier
	s_and_saveexec_b64 s[10:11], s[2:3]
	s_cbranch_execz .LBB3_82
; %bb.79:
	v_cmp_gt_u32_e32 vcc, 4, v10
	v_bfrev_b32_e32 v0, 1
	s_and_saveexec_b64 s[16:17], vcc
	s_cbranch_execz .LBB3_81
; %bb.80:
	v_lshlrev_b32_e32 v0, 2, v10
	ds_read_b32 v0, v0 offset:320
.LBB3_81:
	s_or_b64 exec, exec, s[16:17]
	s_waitcnt lgkmcnt(0)
	ds_bpermute_b32 v1, v6, v0
	s_waitcnt lgkmcnt(0)
	v_max_i32_e32 v0, v0, v1
	ds_bpermute_b32 v1, v7, v0
	s_waitcnt lgkmcnt(0)
	v_max_i32_e32 v0, v0, v1
	;; [unrolled: 3-line block ×4, first 2 shown]
.LBB3_82:
	s_or_b64 exec, exec, s[10:11]
	v_mov_b32_e32 v1, 0
	s_barrier
	s_and_saveexec_b64 s[10:11], s[4:5]
	s_cbranch_execz .LBB3_84
; %bb.83:
	s_ashr_i32 s7, s6, 31
	s_add_i32 s16, s33, -1
	s_lshl_b64 s[6:7], s[6:7], 2
	s_add_u32 s6, s14, s6
	v_mov_b32_e32 v1, 0
	s_addc_u32 s7, s15, s7
	global_store_dword v1, v0, s[6:7]
	v_mov_b32_e32 v0, s16
	s_waitcnt vmcnt(0)
	buffer_wbinvl1_vol
	global_atomic_inc v0, v1, v0, s[24:25] glc
	s_waitcnt vmcnt(0)
	v_cmp_eq_u32_e32 vcc, s16, v0
	v_cndmask_b32_e64 v1, 0, 1, vcc
.LBB3_84:
	s_or_b64 exec, exec, s[10:11]
	s_nop 0
	v_or_b32_dpp v0, v1, v1 row_shl:1 row_mask:0xf bank_mask:0xf bound_ctrl:1
	s_bitcmp1_b32 exec_hi, 0
	s_nop 0
	v_or_b32_dpp v0, v0, v0 row_shl:2 row_mask:0xf bank_mask:0xf bound_ctrl:1
	s_nop 1
	v_or_b32_dpp v0, v0, v0 row_shl:4 row_mask:0xf bank_mask:0xf bound_ctrl:1
	;; [unrolled: 2-line block ×3, first 2 shown]
	s_nop 1
	v_mov_b32_dpp v1, v0 wave_shl:1 row_mask:0xf bank_mask:0xf bound_ctrl:1
	s_nop 1
	v_or_b32_dpp v0, v1, v0 row_mirror row_mask:0xf bank_mask:0xf bound_ctrl:1
	v_readlane_b32 s6, v0, 32
	s_cselect_b32 s6, s6, 0
	v_readlane_b32 s7, v0, 0
	s_or_b32 s10, s6, s7
	s_and_b64 vcc, exec, s[8:9]
	v_mov_b32_e32 v0, s10
	s_cbranch_vccnz .LBB3_91
; %bb.85:
	v_mad_u64_u32 v[0:1], s[6:7], v16, v15, v[2:3]
	v_lshrrev_b32_e32 v1, 6, v0
	v_or_b32_e32 v1, v1, v13
	v_cmp_eq_u32_e32 vcc, 0, v1
	s_and_saveexec_b64 s[6:7], vcc
	s_cbranch_execz .LBB3_87
; %bb.86:
	v_mov_b32_e32 v1, 0
	v_mov_b32_e32 v4, s10
	ds_write_b32 v1, v4
.LBB3_87:
	s_or_b64 exec, exec, s[6:7]
	v_cmp_eq_u32_e32 vcc, 0, v13
	v_cmp_lt_u32_e64 s[6:7], 63, v0
	s_and_b64 s[8:9], vcc, s[6:7]
	s_waitcnt lgkmcnt(0)
	s_barrier
	s_and_saveexec_b64 s[6:7], s[8:9]
	s_cbranch_execz .LBB3_90
; %bb.88:
	v_mbcnt_lo_u32_b32 v0, exec_lo, 0
	v_mbcnt_hi_u32_b32 v0, exec_hi, v0
	v_cmp_eq_u32_e32 vcc, 0, v0
	s_and_b64 exec, exec, vcc
	s_cbranch_execz .LBB3_90
; %bb.89:
	v_mov_b32_e32 v0, 0
	v_mov_b32_e32 v1, s10
	ds_or_b32 v0, v1
.LBB3_90:
	s_or_b64 exec, exec, s[6:7]
	v_mov_b32_e32 v0, 0
	s_waitcnt lgkmcnt(0)
	s_barrier
	ds_read_b32 v0, v0
	s_waitcnt lgkmcnt(0)
	s_barrier
.LBB3_91:
	v_cmp_eq_u32_e32 vcc, 0, v0
	s_cbranch_vccnz .LBB3_112
; %bb.92:
	v_cmp_gt_i32_e32 vcc, s33, v2
	v_bfrev_b32_e32 v14, 1
	s_waitcnt vmcnt(0)
	buffer_wbinvl1_vol
	s_and_saveexec_b64 s[6:7], vcc
	s_cbranch_execz .LBB3_104
; %bb.93:
	v_xad_u32 v1, v2, -1, s33
	s_movk_i32 s8, 0xff
	v_cmp_lt_u32_e32 vcc, s8, v1
	s_mov_b64 s[10:11], -1
	v_bfrev_b32_e32 v13, 1
	v_mov_b32_e32 v0, v2
	v_pk_mov_b32 v[4:5], v[2:3], v[2:3] op_sel:[0,1]
                                        ; implicit-def: $vgpr14
	s_and_saveexec_b64 s[8:9], vcc
	s_cbranch_execz .LBB3_99
; %bb.94:
	v_lshrrev_b32_e32 v0, 8, v1
	v_add_u32_e32 v13, 1, v0
	v_and_b32_e32 v15, 0x1fffffe, v13
	v_add_u32_e32 v3, 0x100, v2
	s_mov_b64 s[10:11], 0
	v_bfrev_b32_e32 v14, 1
	v_mov_b32_e32 v16, s15
	v_mov_b32_e32 v1, 0
	;; [unrolled: 1-line block ×3, first 2 shown]
	v_pk_mov_b32 v[4:5], v[2:3], v[2:3] op_sel:[0,1]
	v_bfrev_b32_e32 v3, 1
.LBB3_95:                               ; =>This Inner Loop Header: Depth=1
	v_mov_b32_e32 v0, v4
	v_lshlrev_b64 v[18:19], 2, v[0:1]
	v_mov_b32_e32 v0, v5
	v_add_co_u32_e32 v18, vcc, s14, v18
	v_addc_co_u32_e32 v19, vcc, v16, v19, vcc
	v_lshlrev_b64 v[20:21], 2, v[0:1]
	v_add_co_u32_e32 v20, vcc, s14, v20
	v_addc_co_u32_e32 v21, vcc, v16, v21, vcc
	global_load_dword v0, v[18:19], off
	global_load_dword v22, v[20:21], off
	v_add_u32_e32 v17, -2, v17
	v_cmp_eq_u32_e32 vcc, 0, v17
	v_add_u32_e32 v4, 0x200, v4
	v_add_u32_e32 v5, 0x200, v5
	s_or_b64 s[10:11], vcc, s[10:11]
	s_waitcnt vmcnt(1)
	v_max_i32_e32 v14, v14, v0
	s_waitcnt vmcnt(0)
	v_max_i32_e32 v3, v3, v22
	s_andn2_b64 exec, exec, s[10:11]
	s_cbranch_execnz .LBB3_95
; %bb.96:
	s_or_b64 exec, exec, s[10:11]
	v_max_i32_e32 v14, v14, v3
	v_cmp_ne_u32_e32 vcc, v13, v15
	s_mov_b64 s[10:11], 0
	v_bfrev_b32_e32 v13, 1
                                        ; implicit-def: $vgpr0
                                        ; implicit-def: $vgpr4_vgpr5
	s_and_saveexec_b64 s[16:17], vcc
	s_xor_b64 s[16:17], exec, s[16:17]
; %bb.97:
	v_lshl_add_u32 v0, v15, 8, v2
	v_mov_b32_e32 v1, 0
	s_mov_b64 s[10:11], exec
	v_mov_b32_e32 v13, v14
	v_pk_mov_b32 v[4:5], v[0:1], v[0:1] op_sel:[0,1]
; %bb.98:
	s_or_b64 exec, exec, s[16:17]
	s_orn2_b64 s[10:11], s[10:11], exec
.LBB3_99:
	s_or_b64 exec, exec, s[8:9]
	s_and_saveexec_b64 s[8:9], s[10:11]
	s_cbranch_execz .LBB3_103
; %bb.100:
	v_lshlrev_b64 v[4:5], 2, v[4:5]
	v_mov_b32_e32 v1, s15
	v_add_co_u32_e32 v4, vcc, s14, v4
	v_addc_co_u32_e32 v5, vcc, v1, v5, vcc
	s_mov_b64 s[10:11], 0
.LBB3_101:                              ; =>This Inner Loop Header: Depth=1
	global_load_dword v1, v[4:5], off
	v_add_co_u32_e32 v4, vcc, 0x400, v4
	v_add_u32_e32 v0, 0x100, v0
	v_addc_co_u32_e32 v5, vcc, 0, v5, vcc
	v_cmp_le_i32_e32 vcc, s33, v0
	s_or_b64 s[10:11], vcc, s[10:11]
	s_waitcnt vmcnt(0)
	v_max_i32_e32 v13, v13, v1
	s_andn2_b64 exec, exec, s[10:11]
	s_cbranch_execnz .LBB3_101
; %bb.102:
	s_or_b64 exec, exec, s[10:11]
	v_mov_b32_e32 v14, v13
.LBB3_103:
	s_or_b64 exec, exec, s[8:9]
.LBB3_104:
	s_or_b64 exec, exec, s[6:7]
	ds_bpermute_b32 v0, v6, v14
	s_waitcnt lgkmcnt(0)
	v_max_i32_e32 v0, v14, v0
	ds_bpermute_b32 v1, v7, v0
	s_waitcnt lgkmcnt(0)
	v_max_i32_e32 v0, v0, v1
	;; [unrolled: 3-line block ×6, first 2 shown]
	s_and_saveexec_b64 s[6:7], s[0:1]
	s_cbranch_execz .LBB3_106
; %bb.105:
	v_lshrrev_b32_e32 v1, 4, v2
	ds_write_b32 v1, v0 offset:320
.LBB3_106:
	s_or_b64 exec, exec, s[6:7]
	s_waitcnt lgkmcnt(0)
	s_barrier
	s_and_saveexec_b64 s[0:1], s[2:3]
	s_cbranch_execz .LBB3_110
; %bb.107:
	v_cmp_gt_u32_e32 vcc, 4, v10
	v_bfrev_b32_e32 v0, 1
	s_and_saveexec_b64 s[2:3], vcc
	s_cbranch_execz .LBB3_109
; %bb.108:
	v_lshlrev_b32_e32 v0, 2, v10
	ds_read_b32 v0, v0 offset:320
.LBB3_109:
	s_or_b64 exec, exec, s[2:3]
	s_waitcnt lgkmcnt(0)
	ds_bpermute_b32 v1, v6, v0
	s_waitcnt lgkmcnt(0)
	v_max_i32_e32 v0, v0, v1
	ds_bpermute_b32 v1, v7, v0
	s_waitcnt lgkmcnt(0)
	v_max_i32_e32 v0, v0, v1
	;; [unrolled: 3-line block ×4, first 2 shown]
.LBB3_110:
	s_or_b64 exec, exec, s[0:1]
	s_barrier
	s_and_saveexec_b64 s[0:1], s[4:5]
	s_cbranch_execz .LBB3_112
; %bb.111:
	v_mov_b32_e32 v1, 0
	global_store_dword v1, v0, s[12:13]
.LBB3_112:
	s_endpgm
	.section	.rodata,"a",@progbits
	.p2align	6, 0x0
	.amdhsa_kernel _ZN4RAJA6policy3hip4impl18forallp_hip_kernelINS1_8hip_execINS_17iteration_mapping6DirectENS_3hip11IndexGlobalILNS_9named_dimE0ELi256ELi0EEENS7_40AvoidDeviceMaxThreadOccupancyConcretizerINS7_34FractionOffsetOccupancyConcretizerINS_8FractionImLm1ELm1EEELln1EEEEELb1EEENS_9Iterators16numeric_iteratorIllPlEEZN8rajaperf5basic11REDUCE3_INT26runHipVariantRAJANewReduceILm256ENSM_11gpu_mapping20global_direct_helperEEEvNSM_9VariantIDEEUllRNS_4expt5ValOpIiNS_9operators4plusEEERNSU_IiNSV_7minimumEEERNSU_IiNSV_7maximumEEEE_lNST_15ForallParamPackIJNST_6detail7ReducerINSW_IiiiEEiSX_EENS18_INSZ_IiiiEEiS10_EENS18_INS12_IiiiEEiS13_EEEEES6_SA_TnNSt9enable_ifIXaasr3std10is_base_ofINS5_10DirectBaseET4_EE5valuegtsrT5_10block_sizeLi0EEmE4typeELm256EEEvT1_T0_T2_T3_
		.amdhsa_group_segment_fixed_size 448
		.amdhsa_private_segment_fixed_size 0
		.amdhsa_kernarg_size 400
		.amdhsa_user_sgpr_count 6
		.amdhsa_user_sgpr_private_segment_buffer 1
		.amdhsa_user_sgpr_dispatch_ptr 0
		.amdhsa_user_sgpr_queue_ptr 0
		.amdhsa_user_sgpr_kernarg_segment_ptr 1
		.amdhsa_user_sgpr_dispatch_id 0
		.amdhsa_user_sgpr_flat_scratch_init 0
		.amdhsa_user_sgpr_kernarg_preload_length 0
		.amdhsa_user_sgpr_kernarg_preload_offset 0
		.amdhsa_user_sgpr_private_segment_size 0
		.amdhsa_uses_dynamic_stack 0
		.amdhsa_system_sgpr_private_segment_wavefront_offset 0
		.amdhsa_system_sgpr_workgroup_id_x 1
		.amdhsa_system_sgpr_workgroup_id_y 0
		.amdhsa_system_sgpr_workgroup_id_z 0
		.amdhsa_system_sgpr_workgroup_info 0
		.amdhsa_system_vgpr_workitem_id 2
		.amdhsa_next_free_vgpr 29
		.amdhsa_next_free_sgpr 36
		.amdhsa_accum_offset 32
		.amdhsa_reserve_vcc 1
		.amdhsa_reserve_flat_scratch 0
		.amdhsa_float_round_mode_32 0
		.amdhsa_float_round_mode_16_64 0
		.amdhsa_float_denorm_mode_32 3
		.amdhsa_float_denorm_mode_16_64 3
		.amdhsa_dx10_clamp 1
		.amdhsa_ieee_mode 1
		.amdhsa_fp16_overflow 0
		.amdhsa_tg_split 0
		.amdhsa_exception_fp_ieee_invalid_op 0
		.amdhsa_exception_fp_denorm_src 0
		.amdhsa_exception_fp_ieee_div_zero 0
		.amdhsa_exception_fp_ieee_overflow 0
		.amdhsa_exception_fp_ieee_underflow 0
		.amdhsa_exception_fp_ieee_inexact 0
		.amdhsa_exception_int_div_zero 0
	.end_amdhsa_kernel
	.section	.text._ZN4RAJA6policy3hip4impl18forallp_hip_kernelINS1_8hip_execINS_17iteration_mapping6DirectENS_3hip11IndexGlobalILNS_9named_dimE0ELi256ELi0EEENS7_40AvoidDeviceMaxThreadOccupancyConcretizerINS7_34FractionOffsetOccupancyConcretizerINS_8FractionImLm1ELm1EEELln1EEEEELb1EEENS_9Iterators16numeric_iteratorIllPlEEZN8rajaperf5basic11REDUCE3_INT26runHipVariantRAJANewReduceILm256ENSM_11gpu_mapping20global_direct_helperEEEvNSM_9VariantIDEEUllRNS_4expt5ValOpIiNS_9operators4plusEEERNSU_IiNSV_7minimumEEERNSU_IiNSV_7maximumEEEE_lNST_15ForallParamPackIJNST_6detail7ReducerINSW_IiiiEEiSX_EENS18_INSZ_IiiiEEiS10_EENS18_INS12_IiiiEEiS13_EEEEES6_SA_TnNSt9enable_ifIXaasr3std10is_base_ofINS5_10DirectBaseET4_EE5valuegtsrT5_10block_sizeLi0EEmE4typeELm256EEEvT1_T0_T2_T3_,"axG",@progbits,_ZN4RAJA6policy3hip4impl18forallp_hip_kernelINS1_8hip_execINS_17iteration_mapping6DirectENS_3hip11IndexGlobalILNS_9named_dimE0ELi256ELi0EEENS7_40AvoidDeviceMaxThreadOccupancyConcretizerINS7_34FractionOffsetOccupancyConcretizerINS_8FractionImLm1ELm1EEELln1EEEEELb1EEENS_9Iterators16numeric_iteratorIllPlEEZN8rajaperf5basic11REDUCE3_INT26runHipVariantRAJANewReduceILm256ENSM_11gpu_mapping20global_direct_helperEEEvNSM_9VariantIDEEUllRNS_4expt5ValOpIiNS_9operators4plusEEERNSU_IiNSV_7minimumEEERNSU_IiNSV_7maximumEEEE_lNST_15ForallParamPackIJNST_6detail7ReducerINSW_IiiiEEiSX_EENS18_INSZ_IiiiEEiS10_EENS18_INS12_IiiiEEiS13_EEEEES6_SA_TnNSt9enable_ifIXaasr3std10is_base_ofINS5_10DirectBaseET4_EE5valuegtsrT5_10block_sizeLi0EEmE4typeELm256EEEvT1_T0_T2_T3_,comdat
.Lfunc_end3:
	.size	_ZN4RAJA6policy3hip4impl18forallp_hip_kernelINS1_8hip_execINS_17iteration_mapping6DirectENS_3hip11IndexGlobalILNS_9named_dimE0ELi256ELi0EEENS7_40AvoidDeviceMaxThreadOccupancyConcretizerINS7_34FractionOffsetOccupancyConcretizerINS_8FractionImLm1ELm1EEELln1EEEEELb1EEENS_9Iterators16numeric_iteratorIllPlEEZN8rajaperf5basic11REDUCE3_INT26runHipVariantRAJANewReduceILm256ENSM_11gpu_mapping20global_direct_helperEEEvNSM_9VariantIDEEUllRNS_4expt5ValOpIiNS_9operators4plusEEERNSU_IiNSV_7minimumEEERNSU_IiNSV_7maximumEEEE_lNST_15ForallParamPackIJNST_6detail7ReducerINSW_IiiiEEiSX_EENS18_INSZ_IiiiEEiS10_EENS18_INS12_IiiiEEiS13_EEEEES6_SA_TnNSt9enable_ifIXaasr3std10is_base_ofINS5_10DirectBaseET4_EE5valuegtsrT5_10block_sizeLi0EEmE4typeELm256EEEvT1_T0_T2_T3_, .Lfunc_end3-_ZN4RAJA6policy3hip4impl18forallp_hip_kernelINS1_8hip_execINS_17iteration_mapping6DirectENS_3hip11IndexGlobalILNS_9named_dimE0ELi256ELi0EEENS7_40AvoidDeviceMaxThreadOccupancyConcretizerINS7_34FractionOffsetOccupancyConcretizerINS_8FractionImLm1ELm1EEELln1EEEEELb1EEENS_9Iterators16numeric_iteratorIllPlEEZN8rajaperf5basic11REDUCE3_INT26runHipVariantRAJANewReduceILm256ENSM_11gpu_mapping20global_direct_helperEEEvNSM_9VariantIDEEUllRNS_4expt5ValOpIiNS_9operators4plusEEERNSU_IiNSV_7minimumEEERNSU_IiNSV_7maximumEEEE_lNST_15ForallParamPackIJNST_6detail7ReducerINSW_IiiiEEiSX_EENS18_INSZ_IiiiEEiS10_EENS18_INS12_IiiiEEiS13_EEEEES6_SA_TnNSt9enable_ifIXaasr3std10is_base_ofINS5_10DirectBaseET4_EE5valuegtsrT5_10block_sizeLi0EEmE4typeELm256EEEvT1_T0_T2_T3_
                                        ; -- End function
	.section	.AMDGPU.csdata,"",@progbits
; Kernel info:
; codeLenInByte = 4324
; NumSgprs: 40
; NumVgprs: 29
; NumAgprs: 0
; TotalNumVgprs: 29
; ScratchSize: 0
; MemoryBound: 0
; FloatMode: 240
; IeeeMode: 1
; LDSByteSize: 448 bytes/workgroup (compile time only)
; SGPRBlocks: 4
; VGPRBlocks: 3
; NumSGPRsForWavesPerEU: 40
; NumVGPRsForWavesPerEU: 29
; AccumOffset: 32
; Occupancy: 8
; WaveLimiterHint : 0
; COMPUTE_PGM_RSRC2:SCRATCH_EN: 0
; COMPUTE_PGM_RSRC2:USER_SGPR: 6
; COMPUTE_PGM_RSRC2:TRAP_HANDLER: 0
; COMPUTE_PGM_RSRC2:TGID_X_EN: 1
; COMPUTE_PGM_RSRC2:TGID_Y_EN: 0
; COMPUTE_PGM_RSRC2:TGID_Z_EN: 0
; COMPUTE_PGM_RSRC2:TIDIG_COMP_CNT: 2
; COMPUTE_PGM_RSRC3_GFX90A:ACCUM_OFFSET: 7
; COMPUTE_PGM_RSRC3_GFX90A:TG_SPLIT: 0
	.section	.text._ZN4RAJA6policy3hip4impl18forallp_hip_kernelINS1_8hip_execINS_17iteration_mapping11StridedLoopILm0EEENS_3hip11IndexGlobalILNS_9named_dimE0ELi256ELi0EEENS8_40AvoidDeviceMaxThreadOccupancyConcretizerINS8_34FractionOffsetOccupancyConcretizerINS_8FractionImLm1ELm1EEELln1EEEEELb1EEENS_9Iterators16numeric_iteratorIllPlEEZN8rajaperf5basic11REDUCE3_INT17runHipVariantRAJAILm256ENSN_13gpu_algorithm19block_atomic_helperENSN_11gpu_mapping40global_loop_occupancy_grid_stride_helperEEEvNSN_9VariantIDEEUllE_lNS_4expt15ForallParamPackIJEEES7_SB_TnNSt9enable_ifIXaaaasr3std10is_base_ofINS5_15StridedLoopBaseET4_EE5valuesr3std10is_base_ofINS5_15UnsizedLoopBaseES12_EE5valuegtsrT5_10block_sizeLi0EEmE4typeELm256EEEvT1_T0_T2_T3_,"axG",@progbits,_ZN4RAJA6policy3hip4impl18forallp_hip_kernelINS1_8hip_execINS_17iteration_mapping11StridedLoopILm0EEENS_3hip11IndexGlobalILNS_9named_dimE0ELi256ELi0EEENS8_40AvoidDeviceMaxThreadOccupancyConcretizerINS8_34FractionOffsetOccupancyConcretizerINS_8FractionImLm1ELm1EEELln1EEEEELb1EEENS_9Iterators16numeric_iteratorIllPlEEZN8rajaperf5basic11REDUCE3_INT17runHipVariantRAJAILm256ENSN_13gpu_algorithm19block_atomic_helperENSN_11gpu_mapping40global_loop_occupancy_grid_stride_helperEEEvNSN_9VariantIDEEUllE_lNS_4expt15ForallParamPackIJEEES7_SB_TnNSt9enable_ifIXaaaasr3std10is_base_ofINS5_15StridedLoopBaseET4_EE5valuesr3std10is_base_ofINS5_15UnsizedLoopBaseES12_EE5valuegtsrT5_10block_sizeLi0EEmE4typeELm256EEEvT1_T0_T2_T3_,comdat
	.protected	_ZN4RAJA6policy3hip4impl18forallp_hip_kernelINS1_8hip_execINS_17iteration_mapping11StridedLoopILm0EEENS_3hip11IndexGlobalILNS_9named_dimE0ELi256ELi0EEENS8_40AvoidDeviceMaxThreadOccupancyConcretizerINS8_34FractionOffsetOccupancyConcretizerINS_8FractionImLm1ELm1EEELln1EEEEELb1EEENS_9Iterators16numeric_iteratorIllPlEEZN8rajaperf5basic11REDUCE3_INT17runHipVariantRAJAILm256ENSN_13gpu_algorithm19block_atomic_helperENSN_11gpu_mapping40global_loop_occupancy_grid_stride_helperEEEvNSN_9VariantIDEEUllE_lNS_4expt15ForallParamPackIJEEES7_SB_TnNSt9enable_ifIXaaaasr3std10is_base_ofINS5_15StridedLoopBaseET4_EE5valuesr3std10is_base_ofINS5_15UnsizedLoopBaseES12_EE5valuegtsrT5_10block_sizeLi0EEmE4typeELm256EEEvT1_T0_T2_T3_ ; -- Begin function _ZN4RAJA6policy3hip4impl18forallp_hip_kernelINS1_8hip_execINS_17iteration_mapping11StridedLoopILm0EEENS_3hip11IndexGlobalILNS_9named_dimE0ELi256ELi0EEENS8_40AvoidDeviceMaxThreadOccupancyConcretizerINS8_34FractionOffsetOccupancyConcretizerINS_8FractionImLm1ELm1EEELln1EEEEELb1EEENS_9Iterators16numeric_iteratorIllPlEEZN8rajaperf5basic11REDUCE3_INT17runHipVariantRAJAILm256ENSN_13gpu_algorithm19block_atomic_helperENSN_11gpu_mapping40global_loop_occupancy_grid_stride_helperEEEvNSN_9VariantIDEEUllE_lNS_4expt15ForallParamPackIJEEES7_SB_TnNSt9enable_ifIXaaaasr3std10is_base_ofINS5_15StridedLoopBaseET4_EE5valuesr3std10is_base_ofINS5_15UnsizedLoopBaseES12_EE5valuegtsrT5_10block_sizeLi0EEmE4typeELm256EEEvT1_T0_T2_T3_
	.globl	_ZN4RAJA6policy3hip4impl18forallp_hip_kernelINS1_8hip_execINS_17iteration_mapping11StridedLoopILm0EEENS_3hip11IndexGlobalILNS_9named_dimE0ELi256ELi0EEENS8_40AvoidDeviceMaxThreadOccupancyConcretizerINS8_34FractionOffsetOccupancyConcretizerINS_8FractionImLm1ELm1EEELln1EEEEELb1EEENS_9Iterators16numeric_iteratorIllPlEEZN8rajaperf5basic11REDUCE3_INT17runHipVariantRAJAILm256ENSN_13gpu_algorithm19block_atomic_helperENSN_11gpu_mapping40global_loop_occupancy_grid_stride_helperEEEvNSN_9VariantIDEEUllE_lNS_4expt15ForallParamPackIJEEES7_SB_TnNSt9enable_ifIXaaaasr3std10is_base_ofINS5_15StridedLoopBaseET4_EE5valuesr3std10is_base_ofINS5_15UnsizedLoopBaseES12_EE5valuegtsrT5_10block_sizeLi0EEmE4typeELm256EEEvT1_T0_T2_T3_
	.p2align	8
	.type	_ZN4RAJA6policy3hip4impl18forallp_hip_kernelINS1_8hip_execINS_17iteration_mapping11StridedLoopILm0EEENS_3hip11IndexGlobalILNS_9named_dimE0ELi256ELi0EEENS8_40AvoidDeviceMaxThreadOccupancyConcretizerINS8_34FractionOffsetOccupancyConcretizerINS_8FractionImLm1ELm1EEELln1EEEEELb1EEENS_9Iterators16numeric_iteratorIllPlEEZN8rajaperf5basic11REDUCE3_INT17runHipVariantRAJAILm256ENSN_13gpu_algorithm19block_atomic_helperENSN_11gpu_mapping40global_loop_occupancy_grid_stride_helperEEEvNSN_9VariantIDEEUllE_lNS_4expt15ForallParamPackIJEEES7_SB_TnNSt9enable_ifIXaaaasr3std10is_base_ofINS5_15StridedLoopBaseET4_EE5valuesr3std10is_base_ofINS5_15UnsizedLoopBaseES12_EE5valuegtsrT5_10block_sizeLi0EEmE4typeELm256EEEvT1_T0_T2_T3_,@function
_ZN4RAJA6policy3hip4impl18forallp_hip_kernelINS1_8hip_execINS_17iteration_mapping11StridedLoopILm0EEENS_3hip11IndexGlobalILNS_9named_dimE0ELi256ELi0EEENS8_40AvoidDeviceMaxThreadOccupancyConcretizerINS8_34FractionOffsetOccupancyConcretizerINS_8FractionImLm1ELm1EEELln1EEEEELb1EEENS_9Iterators16numeric_iteratorIllPlEEZN8rajaperf5basic11REDUCE3_INT17runHipVariantRAJAILm256ENSN_13gpu_algorithm19block_atomic_helperENSN_11gpu_mapping40global_loop_occupancy_grid_stride_helperEEEvNSN_9VariantIDEEUllE_lNS_4expt15ForallParamPackIJEEES7_SB_TnNSt9enable_ifIXaaaasr3std10is_base_ofINS5_15StridedLoopBaseET4_EE5valuesr3std10is_base_ofINS5_15UnsizedLoopBaseES12_EE5valuegtsrT5_10block_sizeLi0EEmE4typeELm256EEEvT1_T0_T2_T3_: ; @_ZN4RAJA6policy3hip4impl18forallp_hip_kernelINS1_8hip_execINS_17iteration_mapping11StridedLoopILm0EEENS_3hip11IndexGlobalILNS_9named_dimE0ELi256ELi0EEENS8_40AvoidDeviceMaxThreadOccupancyConcretizerINS8_34FractionOffsetOccupancyConcretizerINS_8FractionImLm1ELm1EEELln1EEEEELb1EEENS_9Iterators16numeric_iteratorIllPlEEZN8rajaperf5basic11REDUCE3_INT17runHipVariantRAJAILm256ENSN_13gpu_algorithm19block_atomic_helperENSN_11gpu_mapping40global_loop_occupancy_grid_stride_helperEEEvNSN_9VariantIDEEUllE_lNS_4expt15ForallParamPackIJEEES7_SB_TnNSt9enable_ifIXaaaasr3std10is_base_ofINS5_15StridedLoopBaseET4_EE5valuesr3std10is_base_ofINS5_15UnsizedLoopBaseES12_EE5valuegtsrT5_10block_sizeLi0EEmE4typeELm256EEEvT1_T0_T2_T3_
; %bb.0:
	s_load_dword s1, s[4:5], 0x14
	s_load_dwordx4 s[16:19], s[4:5], 0x20
	s_load_dwordx2 s[10:11], s[4:5], 0x30
	s_load_dword s9, s[4:5], 0x3c
	s_load_dwordx4 s[12:15], s[4:5], 0x68
	s_load_dword s33, s[4:5], 0x5c
	s_mov_b32 s25, 0
	s_mov_b32 s0, s7
	;; [unrolled: 1-line block ×3, first 2 shown]
	v_and_b32_e32 v1, 0x3ff, v0
	s_lshl_b64 s[2:3], s[6:7], 8
	v_or_b32_e32 v2, s2, v1
	v_mov_b32_e32 v3, s3
	s_waitcnt lgkmcnt(0)
	v_cmp_gt_i64_e32 vcc, s[14:15], v[2:3]
	v_mov_b32_e32 v10, s33
	v_mov_b32_e32 v9, s9
	v_mov_b32_e32 v8, s1
	s_and_saveexec_b64 s[20:21], vcc
	s_cbranch_execz .LBB4_16
; %bb.1:
	s_load_dword s24, s[4:5], 0x80
	v_mov_b32_e32 v4, s15
	s_waitcnt lgkmcnt(0)
	s_lshl_b64 s[22:23], s[24:25], 8
	v_mov_b32_e32 v5, s23
	v_add_co_u32_e32 v6, vcc, s22, v2
	v_addc_co_u32_e32 v7, vcc, v3, v5, vcc
	v_cmp_gt_i64_e32 vcc, s[14:15], v[6:7]
	v_cndmask_b32_e32 v8, v7, v4, vcc
	v_mov_b32_e32 v4, s14
	v_cndmask_b32_e32 v5, v6, v4, vcc
	v_cndmask_b32_e64 v4, 0, 1, vcc
	v_add_co_u32_e32 v6, vcc, v6, v4
	v_addc_co_u32_e32 v7, vcc, 0, v7, vcc
	v_sub_co_u32_e32 v5, vcc, v5, v6
	v_subb_co_u32_e32 v8, vcc, v8, v7, vcc
	v_or_b32_e32 v7, s23, v8
	v_mov_b32_e32 v6, 0
	v_cmp_ne_u64_e32 vcc, 0, v[6:7]
                                        ; implicit-def: $vgpr6_vgpr7
	s_and_saveexec_b64 s[2:3], vcc
	s_xor_b64 s[26:27], exec, s[2:3]
	s_cbranch_execz .LBB4_3
; %bb.2:
	v_cvt_f32_u32_e32 v6, s22
	v_cvt_f32_ubyte0_e32 v7, s23
	s_sub_u32 s2, 0, s22
	s_subb_u32 s3, 0, s23
	v_madmk_f32 v6, v7, 0x4f800000, v6
	v_rcp_f32_e32 v6, v6
	v_mul_f32_e32 v6, 0x5f7ffffc, v6
	v_mul_f32_e32 v7, 0x2f800000, v6
	v_trunc_f32_e32 v7, v7
	v_madmk_f32 v6, v7, 0xcf800000, v6
	v_cvt_u32_f32_e32 v7, v7
	v_cvt_u32_f32_e32 v6, v6
	v_mul_lo_u32 v9, s2, v7
	v_mul_hi_u32 v11, s2, v6
	v_mul_lo_u32 v10, s3, v6
	v_add_u32_e32 v9, v11, v9
	v_mul_lo_u32 v12, s2, v6
	v_add_u32_e32 v9, v9, v10
	v_mul_hi_u32 v11, v6, v12
	v_mul_lo_u32 v13, v6, v9
	v_mul_hi_u32 v10, v6, v9
	v_add_co_u32_e32 v11, vcc, v11, v13
	v_addc_co_u32_e32 v10, vcc, 0, v10, vcc
	v_mul_hi_u32 v14, v7, v12
	v_mul_lo_u32 v12, v7, v12
	v_add_co_u32_e32 v11, vcc, v11, v12
	v_mul_hi_u32 v13, v7, v9
	v_addc_co_u32_e32 v10, vcc, v10, v14, vcc
	v_addc_co_u32_e32 v11, vcc, 0, v13, vcc
	v_mul_lo_u32 v9, v7, v9
	v_add_co_u32_e32 v9, vcc, v10, v9
	v_addc_co_u32_e32 v10, vcc, 0, v11, vcc
	v_add_co_u32_e32 v6, vcc, v6, v9
	v_addc_co_u32_e32 v7, vcc, v7, v10, vcc
	v_mul_lo_u32 v9, s2, v7
	v_mul_hi_u32 v10, s2, v6
	v_add_u32_e32 v9, v10, v9
	v_mul_lo_u32 v10, s3, v6
	v_add_u32_e32 v9, v9, v10
	v_mul_lo_u32 v11, s2, v6
	v_mul_hi_u32 v12, v7, v11
	v_mul_lo_u32 v13, v7, v11
	v_mul_lo_u32 v15, v6, v9
	v_mul_hi_u32 v11, v6, v11
	v_mul_hi_u32 v14, v6, v9
	v_add_co_u32_e32 v11, vcc, v11, v15
	v_addc_co_u32_e32 v14, vcc, 0, v14, vcc
	v_add_co_u32_e32 v11, vcc, v11, v13
	v_mul_hi_u32 v10, v7, v9
	v_addc_co_u32_e32 v11, vcc, v14, v12, vcc
	v_addc_co_u32_e32 v10, vcc, 0, v10, vcc
	v_mul_lo_u32 v9, v7, v9
	v_add_co_u32_e32 v9, vcc, v11, v9
	v_addc_co_u32_e32 v10, vcc, 0, v10, vcc
	v_add_co_u32_e32 v9, vcc, v6, v9
	v_addc_co_u32_e32 v10, vcc, v7, v10, vcc
	v_mad_u64_u32 v[6:7], s[2:3], v5, v10, 0
	v_mul_hi_u32 v11, v5, v9
	v_add_co_u32_e32 v12, vcc, v11, v6
	v_addc_co_u32_e32 v13, vcc, 0, v7, vcc
	v_mad_u64_u32 v[6:7], s[2:3], v8, v10, 0
	v_mad_u64_u32 v[10:11], s[2:3], v8, v9, 0
	v_add_co_u32_e32 v9, vcc, v12, v10
	v_addc_co_u32_e32 v9, vcc, v13, v11, vcc
	v_addc_co_u32_e32 v7, vcc, 0, v7, vcc
	v_add_co_u32_e32 v9, vcc, v9, v6
	v_addc_co_u32_e32 v10, vcc, 0, v7, vcc
	v_mul_lo_u32 v11, s23, v9
	v_mul_lo_u32 v12, s22, v10
	v_mad_u64_u32 v[6:7], s[2:3], s22, v9, 0
	v_add3_u32 v7, v7, v12, v11
	v_sub_u32_e32 v11, v8, v7
	v_mov_b32_e32 v12, s23
	v_sub_co_u32_e32 v5, vcc, v5, v6
	v_subb_co_u32_e64 v6, s[2:3], v11, v12, vcc
	v_subrev_co_u32_e64 v11, s[2:3], s22, v5
	v_subbrev_co_u32_e64 v6, s[2:3], 0, v6, s[2:3]
	v_cmp_le_u32_e64 s[2:3], s23, v6
	v_cndmask_b32_e64 v12, 0, -1, s[2:3]
	v_cmp_le_u32_e64 s[2:3], s22, v11
	v_cndmask_b32_e64 v11, 0, -1, s[2:3]
	v_cmp_eq_u32_e64 s[2:3], s23, v6
	v_cndmask_b32_e64 v6, v12, v11, s[2:3]
	v_add_co_u32_e64 v11, s[2:3], 2, v9
	v_subb_co_u32_e32 v7, vcc, v8, v7, vcc
	v_addc_co_u32_e64 v12, s[2:3], 0, v10, s[2:3]
	v_cmp_le_u32_e32 vcc, s23, v7
	v_add_co_u32_e64 v13, s[2:3], 1, v9
	v_cndmask_b32_e64 v8, 0, -1, vcc
	v_cmp_le_u32_e32 vcc, s22, v5
	v_addc_co_u32_e64 v14, s[2:3], 0, v10, s[2:3]
	v_cndmask_b32_e64 v5, 0, -1, vcc
	v_cmp_eq_u32_e32 vcc, s23, v7
	v_cmp_ne_u32_e64 s[2:3], 0, v6
	v_cndmask_b32_e32 v5, v8, v5, vcc
	v_cndmask_b32_e64 v6, v14, v12, s[2:3]
	v_cmp_ne_u32_e32 vcc, 0, v5
	v_cndmask_b32_e64 v5, v13, v11, s[2:3]
	v_cndmask_b32_e32 v7, v10, v6, vcc
	v_cndmask_b32_e32 v6, v9, v5, vcc
                                        ; implicit-def: $vgpr5
.LBB4_3:
	s_andn2_saveexec_b64 s[2:3], s[26:27]
	s_cbranch_execz .LBB4_5
; %bb.4:
	v_cvt_f32_u32_e32 v6, s22
	s_sub_i32 s26, 0, s22
	v_rcp_iflag_f32_e32 v6, v6
	v_mul_f32_e32 v6, 0x4f7ffffe, v6
	v_cvt_u32_f32_e32 v6, v6
	v_mul_lo_u32 v7, s26, v6
	v_mul_hi_u32 v7, v6, v7
	v_add_u32_e32 v6, v6, v7
	v_mul_hi_u32 v6, v5, v6
	v_mul_lo_u32 v7, v6, s22
	v_sub_u32_e32 v5, v5, v7
	v_add_u32_e32 v8, 1, v6
	v_subrev_u32_e32 v7, s22, v5
	v_cmp_le_u32_e32 vcc, s22, v5
	v_cndmask_b32_e32 v5, v5, v7, vcc
	v_cndmask_b32_e32 v6, v6, v8, vcc
	v_add_u32_e32 v7, 1, v6
	v_cmp_le_u32_e32 vcc, s22, v5
	v_cndmask_b32_e32 v6, v6, v7, vcc
	v_mov_b32_e32 v7, 0
.LBB4_5:
	s_or_b64 exec, exec, s[2:3]
	v_add_co_u32_e32 v4, vcc, v6, v4
	v_addc_co_u32_e32 v5, vcc, 0, v7, vcc
	v_add_co_u32_e32 v4, vcc, 1, v4
	v_addc_co_u32_e32 v5, vcc, 0, v5, vcc
	v_cmp_lt_u64_e32 vcc, 1, v[4:5]
	s_mov_b64 s[30:31], 0
                                        ; implicit-def: $vgpr8
                                        ; implicit-def: $vgpr9
                                        ; implicit-def: $vgpr10
                                        ; implicit-def: $sgpr2_sgpr3
                                        ; implicit-def: $sgpr26_sgpr27
	s_and_saveexec_b64 s[28:29], vcc
	s_xor_b64 s[28:29], exec, s[28:29]
	s_cbranch_execz .LBB4_9
; %bb.6:
	s_lshl_b64 s[26:27], s[6:7], 10
	s_lshl_b64 s[2:3], s[12:13], 2
	s_add_u32 s7, s26, s2
	s_addc_u32 s26, s27, s3
	s_add_u32 s7, s16, s7
	v_lshlrev_b32_e32 v8, 2, v1
	s_addc_u32 s26, s17, s26
	v_and_b32_e32 v6, -2, v4
	v_mov_b32_e32 v7, v5
	v_mov_b32_e32 v9, s26
	v_add_co_u32_e32 v8, vcc, s7, v8
	s_lshl_b64 s[30:31], s[24:25], 11
	s_lshl_b64 s[26:27], s[24:25], 10
	v_mov_b32_e32 v12, 0
	v_addc_co_u32_e32 v9, vcc, 0, v9, vcc
	s_mov_b64 s[34:35], 0
	v_mov_b32_e32 v13, s33
	v_mov_b32_e32 v14, s9
	;; [unrolled: 1-line block ×5, first 2 shown]
	v_pk_mov_b32 v[10:11], v[6:7], v[6:7] op_sel:[0,1]
	v_mov_b32_e32 v16, s33
	v_mov_b32_e32 v17, s9
.LBB4_7:                                ; =>This Inner Loop Header: Depth=1
	v_add_co_u32_e32 v20, vcc, s26, v8
	v_addc_co_u32_e32 v21, vcc, v9, v18, vcc
	global_load_dword v22, v[8:9], off
	v_add_co_u32_e32 v10, vcc, -2, v10
	global_load_dword v20, v[20:21], off
	v_addc_co_u32_e32 v11, vcc, -1, v11, vcc
	v_add_co_u32_e32 v8, vcc, s30, v8
	v_addc_co_u32_e32 v9, vcc, v9, v19, vcc
	v_cmp_eq_u64_e32 vcc, 0, v[10:11]
	s_or_b64 s[34:35], vcc, s[34:35]
	s_waitcnt vmcnt(1)
	v_add_u32_e32 v15, v22, v15
	v_min_i32_e32 v14, v22, v14
	v_max_i32_e32 v13, v13, v22
	s_waitcnt vmcnt(0)
	v_add_u32_e32 v12, v20, v12
	v_min_i32_e32 v17, v20, v17
	v_max_i32_e32 v16, v16, v20
	s_andn2_b64 exec, exec, s[34:35]
	s_cbranch_execnz .LBB4_7
; %bb.8:
	s_or_b64 exec, exec, s[34:35]
	v_mad_u64_u32 v[2:3], s[30:31], v6, s22, v[2:3]
	v_mul_lo_u32 v8, v6, s23
	v_mul_lo_u32 v9, v7, s22
	v_cmp_ne_u64_e32 vcc, v[4:5], v[6:7]
	v_add3_u32 v3, v9, v3, v8
	v_max_i32_e32 v10, v13, v16
	v_min_i32_e32 v9, v14, v17
	v_add_u32_e32 v8, v15, v12
	s_and_b64 s[30:31], vcc, exec
.LBB4_9:
	s_or_saveexec_b64 s[28:29], s[28:29]
	v_pk_mov_b32 v[6:7], s[2:3], s[2:3] op_sel:[0,1]
	v_pk_mov_b32 v[4:5], s[26:27], s[26:27] op_sel:[0,1]
	s_xor_b64 exec, exec, s[28:29]
; %bb.10:
	s_lshl_b64 s[2:3], s[12:13], 2
	s_lshl_b64 s[12:13], s[24:25], 10
	v_mov_b32_e32 v8, s1
	v_mov_b32_e32 v9, s9
	;; [unrolled: 1-line block ×3, first 2 shown]
	v_pk_mov_b32 v[6:7], s[2:3], s[2:3] op_sel:[0,1]
	v_pk_mov_b32 v[4:5], s[12:13], s[12:13] op_sel:[0,1]
	s_or_b64 s[30:31], s[30:31], exec
; %bb.11:
	s_or_b64 exec, exec, s[28:29]
	s_and_saveexec_b64 s[2:3], s[30:31]
	s_cbranch_execz .LBB4_15
; %bb.12:
	v_lshlrev_b64 v[12:13], 2, v[2:3]
	v_add_co_u32_e32 v6, vcc, v12, v6
	v_addc_co_u32_e32 v7, vcc, v13, v7, vcc
	v_mov_b32_e32 v11, s17
	v_add_co_u32_e32 v6, vcc, s16, v6
	v_addc_co_u32_e32 v7, vcc, v11, v7, vcc
	s_mov_b64 s[12:13], 0
	v_mov_b32_e32 v11, s23
.LBB4_13:                               ; =>This Inner Loop Header: Depth=1
	global_load_dword v12, v[6:7], off
	v_add_co_u32_e32 v6, vcc, v6, v4
	v_addc_co_u32_e32 v7, vcc, v7, v5, vcc
	v_add_co_u32_e32 v2, vcc, s22, v2
	v_addc_co_u32_e32 v3, vcc, v3, v11, vcc
	v_cmp_le_i64_e32 vcc, s[14:15], v[2:3]
	s_or_b64 s[12:13], vcc, s[12:13]
	s_waitcnt vmcnt(0)
	v_add_u32_e32 v8, v12, v8
	v_min_i32_e32 v9, v12, v9
	v_max_i32_e32 v10, v10, v12
	s_andn2_b64 exec, exec, s[12:13]
	s_cbranch_execnz .LBB4_13
; %bb.14:
	s_or_b64 exec, exec, s[12:13]
.LBB4_15:
	s_or_b64 exec, exec, s[2:3]
.LBB4_16:
	s_or_b64 exec, exec, s[20:21]
	s_load_dwordx4 s[12:15], s[4:5], 0x0
	s_load_dwordx4 s[20:23], s[4:5], 0x48
	s_waitcnt lgkmcnt(0)
	s_cmp_lg_u64 s[20:21], 0
	s_cbranch_scc0 .LBB4_20
; %bb.17:
	s_cmp_lg_u64 s[18:19], 0
	s_cbranch_scc0 .LBB4_34
.LBB4_18:
	s_cmp_lg_u64 s[12:13], 0
	s_cbranch_scc0 .LBB4_48
.LBB4_19:
	s_endpgm
.LBB4_20:
	s_load_dwordx2 s[16:17], s[4:5], 0x80
	s_add_u32 s2, s4, 0x80
	v_mov_b32_e32 v2, 0
	global_load_dword v3, v2, s[4:5] offset:142
	s_addc_u32 s3, s5, 0
	s_waitcnt lgkmcnt(0)
	s_cmp_lt_u32 s6, s16
	s_cselect_b32 s7, 12, 18
	s_add_u32 s2, s2, s7
	s_addc_u32 s3, s3, 0
	global_load_ushort v2, v2, s[2:3]
	v_bfe_u32 v4, v0, 10, 10
	v_bfe_u32 v5, v0, 20, 10
	s_mov_b32 s21, 0
	s_waitcnt vmcnt(1)
	v_readfirstlane_b32 s2, v3
	s_lshr_b32 s3, s2, 16
	s_and_b32 s2, s2, 0xffff
	s_waitcnt vmcnt(0)
	v_readfirstlane_b32 s7, v2
	s_mul_i32 s2, s2, s7
	v_mad_u32_u24 v4, v4, v2, v1
	v_mul_lo_u32 v5, s2, v5
	s_mul_i32 s2, s2, s3
	v_add_u32_e32 v3, v5, v4
	s_ashr_i32 s3, s2, 31
	s_and_b32 s20, s2, 63
	v_mbcnt_lo_u32_b32 v2, -1, 0
	v_ashrrev_i32_e32 v7, 31, v3
	s_cmp_eq_u64 s[20:21], 0
	v_mbcnt_hi_u32_b32 v6, -1, v2
	s_cbranch_scc1 .LBB4_61
; %bb.21:
	v_and_b32_e32 v2, 64, v6
	v_xor_b32_e32 v11, 1, v3
	v_and_or_b32 v12, v11, 63, v2
	v_lshlrev_b32_e32 v12, 2, v12
	ds_bpermute_b32 v12, v12, v10
	v_xor_b32_e32 v13, 2, v3
	v_and_or_b32 v14, v13, 63, v2
	v_cmp_gt_i32_e32 vcc, s2, v11
	s_waitcnt lgkmcnt(0)
	v_max_i32_e32 v12, v10, v12
	v_cndmask_b32_e32 v11, v10, v12, vcc
	v_lshlrev_b32_e32 v12, 2, v14
	ds_bpermute_b32 v12, v12, v11
	v_xor_b32_e32 v14, 4, v3
	v_and_or_b32 v15, v14, 63, v2
	v_cmp_gt_i32_e32 vcc, s2, v13
	v_xor_b32_e32 v13, 8, v3
	s_waitcnt lgkmcnt(0)
	v_max_i32_e32 v12, v11, v12
	v_cndmask_b32_e32 v11, v11, v12, vcc
	v_lshlrev_b32_e32 v12, 2, v15
	ds_bpermute_b32 v12, v12, v11
	v_and_or_b32 v15, v13, 63, v2
	v_cmp_gt_i32_e32 vcc, s2, v14
	v_xor_b32_e32 v14, 16, v3
	s_waitcnt lgkmcnt(0)
	v_max_i32_e32 v12, v11, v12
	v_cndmask_b32_e32 v11, v11, v12, vcc
	v_lshlrev_b32_e32 v12, 2, v15
	ds_bpermute_b32 v12, v12, v11
	v_and_or_b32 v15, v14, 63, v2
	v_cmp_gt_i32_e32 vcc, s2, v13
	v_xor_b32_e32 v13, 32, v3
	v_and_or_b32 v2, v13, 63, v2
	s_waitcnt lgkmcnt(0)
	v_max_i32_e32 v12, v11, v12
	v_cndmask_b32_e32 v11, v11, v12, vcc
	v_lshlrev_b32_e32 v12, 2, v15
	ds_bpermute_b32 v12, v12, v11
	v_cmp_gt_i32_e32 vcc, s2, v14
	v_lshlrev_b32_e32 v2, 2, v2
	s_waitcnt lgkmcnt(0)
	v_max_i32_e32 v12, v11, v12
	v_cndmask_b32_e32 v11, v11, v12, vcc
	ds_bpermute_b32 v2, v2, v11
	v_cmp_gt_i32_e32 vcc, s2, v13
	s_waitcnt lgkmcnt(0)
	v_max_i32_e32 v2, v11, v2
	v_cndmask_b32_e32 v11, v11, v2, vcc
	s_cbranch_execnz .LBB4_23
.LBB4_22:
	v_and_b32_e32 v2, 64, v6
	v_add_u32_e32 v2, 64, v2
	v_xor_b32_e32 v11, 1, v6
	v_cmp_lt_i32_e32 vcc, v11, v2
	v_cndmask_b32_e32 v11, v6, v11, vcc
	v_lshlrev_b32_e32 v11, 2, v11
	ds_bpermute_b32 v11, v11, v10
	v_xor_b32_e32 v12, 2, v6
	v_cmp_lt_i32_e32 vcc, v12, v2
	s_waitcnt lgkmcnt(0)
	v_max_i32_e32 v10, v10, v11
	v_cndmask_b32_e32 v11, v6, v12, vcc
	v_lshlrev_b32_e32 v11, 2, v11
	ds_bpermute_b32 v11, v11, v10
	v_xor_b32_e32 v12, 4, v6
	v_cmp_lt_i32_e32 vcc, v12, v2
	s_waitcnt lgkmcnt(0)
	v_max_i32_e32 v10, v10, v11
	;; [unrolled: 7-line block ×4, first 2 shown]
	v_cndmask_b32_e32 v11, v6, v12, vcc
	v_lshlrev_b32_e32 v11, 2, v11
	ds_bpermute_b32 v11, v11, v10
	v_xor_b32_e32 v12, 32, v6
	v_cmp_lt_i32_e32 vcc, v12, v2
	v_cndmask_b32_e32 v2, v6, v12, vcc
	v_lshlrev_b32_e32 v2, 2, v2
	s_waitcnt lgkmcnt(0)
	v_max_i32_e32 v10, v10, v11
	ds_bpermute_b32 v2, v2, v10
	s_waitcnt lgkmcnt(0)
	v_max_i32_e32 v11, v10, v2
.LBB4_23:
	s_cmpk_lt_i32 s2, 0x41
	s_cbranch_scc1 .LBB4_31
; %bb.24:
	v_lshrrev_b32_e32 v2, 26, v7
	v_add_u32_e32 v10, v3, v2
	v_and_b32_e32 v2, 0xffffffc0, v10
	v_sub_u32_e32 v2, v3, v2
	v_cmp_eq_u32_e32 vcc, 0, v2
	s_and_saveexec_b64 s[20:21], vcc
	s_cbranch_execz .LBB4_26
; %bb.25:
	v_ashrrev_i32_e32 v10, 6, v10
	v_lshlrev_b32_e32 v10, 2, v10
	ds_write_b32 v10, v11
.LBB4_26:
	s_or_b64 exec, exec, s[20:21]
	v_add_co_u32_e32 v12, vcc, 63, v3
	v_addc_co_u32_e32 v13, vcc, 0, v7, vcc
	s_mov_b64 s[20:21], 0x7f
	v_cmp_gt_u64_e32 vcc, s[20:21], v[12:13]
	s_waitcnt lgkmcnt(0)
	s_barrier
	s_and_saveexec_b64 s[20:21], vcc
	s_cbranch_execz .LBB4_30
; %bb.27:
	v_ashrrev_i32_e32 v3, 31, v2
	v_lshlrev_b64 v[10:11], 6, v[2:3]
	v_cmp_gt_i64_e32 vcc, s[2:3], v[10:11]
	v_mov_b32_e32 v3, s33
	s_and_saveexec_b64 s[2:3], vcc
	s_cbranch_execz .LBB4_29
; %bb.28:
	v_lshlrev_b32_e32 v2, 2, v2
	ds_read_b32 v3, v2
.LBB4_29:
	s_or_b64 exec, exec, s[2:3]
	v_and_b32_e32 v2, 64, v6
	v_add_u32_e32 v2, 64, v2
	v_xor_b32_e32 v7, 1, v6
	v_cmp_lt_i32_e32 vcc, v7, v2
	v_cndmask_b32_e32 v7, v6, v7, vcc
	v_lshlrev_b32_e32 v7, 2, v7
	s_waitcnt lgkmcnt(0)
	ds_bpermute_b32 v7, v7, v3
	v_xor_b32_e32 v10, 2, v6
	v_cmp_lt_i32_e32 vcc, v10, v2
	s_waitcnt lgkmcnt(0)
	v_max_i32_e32 v3, v3, v7
	v_cndmask_b32_e32 v7, v6, v10, vcc
	v_lshlrev_b32_e32 v7, 2, v7
	ds_bpermute_b32 v7, v7, v3
	v_xor_b32_e32 v10, 4, v6
	v_cmp_lt_i32_e32 vcc, v10, v2
	s_waitcnt lgkmcnt(0)
	v_max_i32_e32 v3, v3, v7
	v_cndmask_b32_e32 v7, v6, v10, vcc
	v_lshlrev_b32_e32 v7, 2, v7
	ds_bpermute_b32 v7, v7, v3
	v_xor_b32_e32 v10, 8, v6
	v_cmp_lt_i32_e32 vcc, v10, v2
	v_cndmask_b32_e32 v2, v6, v10, vcc
	v_lshlrev_b32_e32 v2, 2, v2
	s_waitcnt lgkmcnt(0)
	v_max_i32_e32 v3, v3, v7
	ds_bpermute_b32 v2, v2, v3
	s_waitcnt lgkmcnt(0)
	v_max_i32_e32 v11, v3, v2
.LBB4_30:
	s_or_b64 exec, exec, s[20:21]
	s_barrier
.LBB4_31:
	v_sub_u32_e32 v2, 0, v5
	v_cmp_eq_u32_e32 vcc, v4, v2
	v_cmp_ne_u32_e64 s[2:3], s33, v11
	s_and_b64 s[20:21], vcc, s[2:3]
	s_and_saveexec_b64 s[2:3], s[20:21]
	s_cbranch_execz .LBB4_33
; %bb.32:
	s_mul_i32 s7, s17, s8
	s_add_i32 s7, s7, s0
	s_mul_i32 s7, s7, s16
	s_add_i32 s7, s7, s6
	s_ashr_i32 s16, s7, 31
	s_lshr_b32 s16, s16, 27
	s_add_i32 s16, s7, s16
	s_and_b32 s16, s16, 0xfffffe0
	s_sub_i32 s7, s7, s16
	s_lshl_b32 s16, s7, 4
	s_ashr_i32 s17, s16, 31
	s_lshl_b64 s[16:17], s[16:17], 2
	s_add_u32 s16, s22, s16
	s_addc_u32 s17, s23, s17
	v_pk_mov_b32 v[2:3], s[16:17], s[16:17] op_sel:[0,1]
	flat_atomic_smax v[2:3], v11
.LBB4_33:
	s_or_b64 exec, exec, s[2:3]
	s_cmp_lg_u64 s[18:19], 0
	s_cbranch_scc1 .LBB4_18
.LBB4_34:
	s_load_dwordx2 s[16:17], s[4:5], 0x80
	s_add_u32 s2, s4, 0x80
	v_mov_b32_e32 v2, 0
	global_load_dword v3, v2, s[4:5] offset:142
	s_addc_u32 s3, s5, 0
	s_waitcnt lgkmcnt(0)
	s_cmp_lt_u32 s6, s16
	s_cselect_b32 s7, 12, 18
	s_add_u32 s2, s2, s7
	s_addc_u32 s3, s3, 0
	global_load_ushort v2, v2, s[2:3]
	v_bfe_u32 v4, v0, 10, 10
	v_bfe_u32 v5, v0, 20, 10
	s_mov_b32 s21, 0
	s_mov_b64 s[18:19], 0
	s_waitcnt vmcnt(0)
	v_readfirstlane_b32 s2, v3
	s_lshr_b32 s3, s2, 16
	s_and_b32 s2, s2, 0xffff
	v_readfirstlane_b32 s7, v2
	s_mul_i32 s2, s2, s7
	v_mad_u32_u24 v4, v4, v2, v1
	v_mul_lo_u32 v5, s2, v5
	s_mul_i32 s2, s2, s3
	v_add_u32_e32 v3, v5, v4
	s_ashr_i32 s3, s2, 31
	s_and_b32 s20, s2, 63
	v_mbcnt_lo_u32_b32 v2, -1, 0
	v_ashrrev_i32_e32 v7, 31, v3
	s_cmp_eq_u64 s[20:21], 0
	v_mbcnt_hi_u32_b32 v6, -1, v2
	s_cbranch_scc1 .LBB4_62
; %bb.35:
	v_and_b32_e32 v2, 64, v6
	v_xor_b32_e32 v10, 1, v3
	v_and_or_b32 v11, v10, 63, v2
	v_lshlrev_b32_e32 v11, 2, v11
	ds_bpermute_b32 v11, v11, v9
	v_xor_b32_e32 v12, 2, v3
	v_and_or_b32 v13, v12, 63, v2
	v_cmp_gt_i32_e32 vcc, s2, v10
	s_waitcnt lgkmcnt(0)
	v_min_i32_e32 v11, v11, v9
	v_cndmask_b32_e32 v10, v9, v11, vcc
	v_lshlrev_b32_e32 v11, 2, v13
	ds_bpermute_b32 v11, v11, v10
	v_xor_b32_e32 v13, 4, v3
	v_and_or_b32 v14, v13, 63, v2
	v_cmp_gt_i32_e32 vcc, s2, v12
	v_xor_b32_e32 v12, 8, v3
	s_waitcnt lgkmcnt(0)
	v_min_i32_e32 v11, v11, v10
	v_cndmask_b32_e32 v10, v10, v11, vcc
	v_lshlrev_b32_e32 v11, 2, v14
	ds_bpermute_b32 v11, v11, v10
	v_and_or_b32 v14, v12, 63, v2
	v_cmp_gt_i32_e32 vcc, s2, v13
	v_xor_b32_e32 v13, 16, v3
	s_waitcnt lgkmcnt(0)
	v_min_i32_e32 v11, v11, v10
	v_cndmask_b32_e32 v10, v10, v11, vcc
	v_lshlrev_b32_e32 v11, 2, v14
	ds_bpermute_b32 v11, v11, v10
	v_and_or_b32 v14, v13, 63, v2
	v_cmp_gt_i32_e32 vcc, s2, v12
	v_xor_b32_e32 v12, 32, v3
	v_and_or_b32 v2, v12, 63, v2
	s_waitcnt lgkmcnt(0)
	v_min_i32_e32 v11, v11, v10
	v_cndmask_b32_e32 v10, v10, v11, vcc
	v_lshlrev_b32_e32 v11, 2, v14
	ds_bpermute_b32 v11, v11, v10
	v_cmp_gt_i32_e32 vcc, s2, v13
	v_lshlrev_b32_e32 v2, 2, v2
	s_waitcnt lgkmcnt(0)
	v_min_i32_e32 v11, v11, v10
	v_cndmask_b32_e32 v10, v10, v11, vcc
	ds_bpermute_b32 v2, v2, v10
	v_cmp_gt_i32_e32 vcc, s2, v12
	s_waitcnt lgkmcnt(0)
	v_min_i32_e32 v2, v2, v10
	v_cndmask_b32_e32 v10, v10, v2, vcc
	s_andn2_b64 vcc, exec, s[18:19]
	s_cbranch_vccnz .LBB4_37
.LBB4_36:
	v_and_b32_e32 v2, 64, v6
	v_add_u32_e32 v2, 64, v2
	v_xor_b32_e32 v10, 1, v6
	v_cmp_lt_i32_e32 vcc, v10, v2
	v_cndmask_b32_e32 v10, v6, v10, vcc
	v_lshlrev_b32_e32 v10, 2, v10
	ds_bpermute_b32 v10, v10, v9
	v_xor_b32_e32 v11, 2, v6
	v_cmp_lt_i32_e32 vcc, v11, v2
	s_waitcnt lgkmcnt(0)
	v_min_i32_e32 v9, v10, v9
	v_cndmask_b32_e32 v10, v6, v11, vcc
	v_lshlrev_b32_e32 v10, 2, v10
	ds_bpermute_b32 v10, v10, v9
	v_xor_b32_e32 v11, 4, v6
	v_cmp_lt_i32_e32 vcc, v11, v2
	s_waitcnt lgkmcnt(0)
	v_min_i32_e32 v9, v10, v9
	;; [unrolled: 7-line block ×4, first 2 shown]
	v_cndmask_b32_e32 v10, v6, v11, vcc
	v_lshlrev_b32_e32 v10, 2, v10
	ds_bpermute_b32 v10, v10, v9
	v_xor_b32_e32 v11, 32, v6
	v_cmp_lt_i32_e32 vcc, v11, v2
	v_cndmask_b32_e32 v2, v6, v11, vcc
	v_lshlrev_b32_e32 v2, 2, v2
	s_waitcnt lgkmcnt(0)
	v_min_i32_e32 v9, v10, v9
	ds_bpermute_b32 v2, v2, v9
	s_waitcnt lgkmcnt(0)
	v_min_i32_e32 v10, v2, v9
.LBB4_37:
	s_cmpk_lt_i32 s2, 0x41
	s_cbranch_scc1 .LBB4_45
; %bb.38:
	v_lshrrev_b32_e32 v2, 26, v7
	v_add_u32_e32 v9, v3, v2
	v_and_b32_e32 v2, 0xffffffc0, v9
	v_sub_u32_e32 v2, v3, v2
	v_cmp_eq_u32_e32 vcc, 0, v2
	s_and_saveexec_b64 s[18:19], vcc
	s_cbranch_execz .LBB4_40
; %bb.39:
	v_ashrrev_i32_e32 v9, 6, v9
	v_lshlrev_b32_e32 v9, 2, v9
	ds_write_b32 v9, v10 offset:64
.LBB4_40:
	s_or_b64 exec, exec, s[18:19]
	v_add_co_u32_e32 v12, vcc, 63, v3
	v_addc_co_u32_e32 v13, vcc, 0, v7, vcc
	s_mov_b64 s[18:19], 0x7f
	v_cmp_gt_u64_e32 vcc, s[18:19], v[12:13]
	s_waitcnt lgkmcnt(0)
	s_barrier
	s_and_saveexec_b64 s[18:19], vcc
	s_cbranch_execz .LBB4_44
; %bb.41:
	v_ashrrev_i32_e32 v3, 31, v2
	v_lshlrev_b64 v[10:11], 6, v[2:3]
	v_cmp_gt_i64_e32 vcc, s[2:3], v[10:11]
	v_mov_b32_e32 v3, s9
	s_and_saveexec_b64 s[2:3], vcc
	s_cbranch_execz .LBB4_43
; %bb.42:
	v_lshlrev_b32_e32 v2, 2, v2
	ds_read_b32 v3, v2 offset:64
.LBB4_43:
	s_or_b64 exec, exec, s[2:3]
	v_and_b32_e32 v2, 64, v6
	v_add_u32_e32 v2, 64, v2
	v_xor_b32_e32 v7, 1, v6
	v_cmp_lt_i32_e32 vcc, v7, v2
	v_cndmask_b32_e32 v7, v6, v7, vcc
	v_lshlrev_b32_e32 v7, 2, v7
	s_waitcnt lgkmcnt(0)
	ds_bpermute_b32 v7, v7, v3
	v_xor_b32_e32 v9, 2, v6
	v_cmp_lt_i32_e32 vcc, v9, v2
	s_waitcnt lgkmcnt(0)
	v_min_i32_e32 v3, v7, v3
	v_cndmask_b32_e32 v7, v6, v9, vcc
	v_lshlrev_b32_e32 v7, 2, v7
	ds_bpermute_b32 v7, v7, v3
	v_xor_b32_e32 v9, 4, v6
	v_cmp_lt_i32_e32 vcc, v9, v2
	s_waitcnt lgkmcnt(0)
	v_min_i32_e32 v3, v7, v3
	v_cndmask_b32_e32 v7, v6, v9, vcc
	v_lshlrev_b32_e32 v7, 2, v7
	ds_bpermute_b32 v7, v7, v3
	v_xor_b32_e32 v9, 8, v6
	v_cmp_lt_i32_e32 vcc, v9, v2
	v_cndmask_b32_e32 v2, v6, v9, vcc
	v_lshlrev_b32_e32 v2, 2, v2
	s_waitcnt lgkmcnt(0)
	v_min_i32_e32 v3, v7, v3
	ds_bpermute_b32 v2, v2, v3
	s_waitcnt lgkmcnt(0)
	v_min_i32_e32 v10, v2, v3
.LBB4_44:
	s_or_b64 exec, exec, s[18:19]
	s_barrier
.LBB4_45:
	v_sub_u32_e32 v2, 0, v5
	v_cmp_eq_u32_e32 vcc, v4, v2
	v_cmp_ne_u32_e64 s[2:3], s9, v10
	s_and_b64 s[18:19], vcc, s[2:3]
	s_and_saveexec_b64 s[2:3], s[18:19]
	s_cbranch_execz .LBB4_47
; %bb.46:
	s_mul_i32 s7, s17, s8
	s_add_i32 s7, s7, s0
	s_mul_i32 s7, s7, s16
	s_add_i32 s7, s7, s6
	s_ashr_i32 s9, s7, 31
	s_lshr_b32 s9, s9, 27
	s_add_i32 s9, s7, s9
	s_and_b32 s9, s9, 0xfffffe0
	s_sub_i32 s7, s7, s9
	s_lshl_b32 s16, s7, 4
	s_ashr_i32 s17, s16, 31
	s_lshl_b64 s[16:17], s[16:17], 2
	s_add_u32 s10, s10, s16
	s_addc_u32 s11, s11, s17
	v_pk_mov_b32 v[2:3], s[10:11], s[10:11] op_sel:[0,1]
	flat_atomic_smin v[2:3], v10
.LBB4_47:
	s_or_b64 exec, exec, s[2:3]
	s_cmp_lg_u64 s[12:13], 0
	s_cbranch_scc1 .LBB4_19
.LBB4_48:
	s_load_dwordx2 s[10:11], s[4:5], 0x80
	s_add_u32 s2, s4, 0x80
	v_mov_b32_e32 v2, 0
	global_load_dword v3, v2, s[4:5] offset:142
	s_addc_u32 s3, s5, 0
	s_waitcnt lgkmcnt(0)
	s_cmp_lt_u32 s6, s10
	s_cselect_b32 s4, 12, 18
	s_add_u32 s2, s2, s4
	s_addc_u32 s3, s3, 0
	global_load_ushort v4, v2, s[2:3]
	v_bfe_u32 v2, v0, 10, 10
	v_bfe_u32 v0, v0, 20, 10
	s_mov_b32 s5, 0
	s_waitcnt vmcnt(0)
	v_readfirstlane_b32 s2, v3
	s_lshr_b32 s3, s2, 16
	s_and_b32 s2, s2, 0xffff
	v_readfirstlane_b32 s4, v4
	s_mul_i32 s2, s2, s4
	v_mad_u32_u24 v2, v2, v4, v1
	v_mul_lo_u32 v3, s2, v0
	s_mul_i32 s2, s2, s3
	v_add_u32_e32 v1, v3, v2
	s_ashr_i32 s3, s2, 31
	s_and_b32 s4, s2, 63
	v_mbcnt_lo_u32_b32 v0, -1, 0
	v_ashrrev_i32_e32 v5, 31, v1
	s_cmp_eq_u64 s[4:5], 0
	v_mbcnt_hi_u32_b32 v4, -1, v0
	s_cbranch_scc1 .LBB4_63
; %bb.49:
	v_and_b32_e32 v0, 64, v4
	v_xor_b32_e32 v6, 1, v1
	v_and_or_b32 v7, v6, 63, v0
	v_lshlrev_b32_e32 v7, 2, v7
	ds_bpermute_b32 v7, v7, v8
	v_xor_b32_e32 v9, 2, v1
	v_cmp_gt_i32_e32 vcc, s2, v6
	v_and_or_b32 v10, v9, 63, v0
	s_waitcnt lgkmcnt(0)
	v_cndmask_b32_e32 v6, 0, v7, vcc
	v_add_u32_e32 v6, v6, v8
	v_lshlrev_b32_e32 v7, 2, v10
	ds_bpermute_b32 v7, v7, v6
	v_xor_b32_e32 v10, 4, v1
	v_cmp_gt_i32_e32 vcc, s2, v9
	v_and_or_b32 v11, v10, 63, v0
	v_xor_b32_e32 v9, 8, v1
	s_waitcnt lgkmcnt(0)
	v_cndmask_b32_e32 v7, 0, v7, vcc
	v_add_u32_e32 v6, v7, v6
	v_lshlrev_b32_e32 v7, 2, v11
	ds_bpermute_b32 v7, v7, v6
	v_cmp_gt_i32_e32 vcc, s2, v10
	v_and_or_b32 v11, v9, 63, v0
	v_xor_b32_e32 v10, 16, v1
	s_waitcnt lgkmcnt(0)
	v_cndmask_b32_e32 v7, 0, v7, vcc
	v_add_u32_e32 v6, v7, v6
	v_lshlrev_b32_e32 v7, 2, v11
	ds_bpermute_b32 v7, v7, v6
	v_cmp_gt_i32_e32 vcc, s2, v9
	v_and_or_b32 v11, v10, 63, v0
	v_xor_b32_e32 v9, 32, v1
	v_and_or_b32 v0, v9, 63, v0
	s_waitcnt lgkmcnt(0)
	v_cndmask_b32_e32 v7, 0, v7, vcc
	v_add_u32_e32 v6, v7, v6
	v_lshlrev_b32_e32 v7, 2, v11
	ds_bpermute_b32 v7, v7, v6
	v_cmp_gt_i32_e32 vcc, s2, v10
	v_lshlrev_b32_e32 v0, 2, v0
	s_waitcnt lgkmcnt(0)
	v_cndmask_b32_e32 v7, 0, v7, vcc
	v_add_u32_e32 v6, v7, v6
	ds_bpermute_b32 v0, v0, v6
	v_cmp_gt_i32_e32 vcc, s2, v9
	s_waitcnt lgkmcnt(0)
	v_cndmask_b32_e32 v0, 0, v0, vcc
	v_add_u32_e32 v6, v0, v6
	s_cbranch_execnz .LBB4_51
.LBB4_50:
	v_and_b32_e32 v0, 64, v4
	v_add_u32_e32 v0, 64, v0
	v_xor_b32_e32 v6, 1, v4
	v_cmp_lt_i32_e32 vcc, v6, v0
	v_cndmask_b32_e32 v6, v4, v6, vcc
	v_lshlrev_b32_e32 v6, 2, v6
	ds_bpermute_b32 v6, v6, v8
	v_xor_b32_e32 v7, 2, v4
	v_cmp_lt_i32_e32 vcc, v7, v0
	v_cndmask_b32_e32 v7, v4, v7, vcc
	v_lshlrev_b32_e32 v7, 2, v7
	s_waitcnt lgkmcnt(0)
	v_add_u32_e32 v6, v6, v8
	ds_bpermute_b32 v7, v7, v6
	v_xor_b32_e32 v8, 4, v4
	v_cmp_lt_i32_e32 vcc, v8, v0
	s_waitcnt lgkmcnt(0)
	v_add_u32_e32 v6, v7, v6
	v_cndmask_b32_e32 v7, v4, v8, vcc
	v_lshlrev_b32_e32 v7, 2, v7
	ds_bpermute_b32 v7, v7, v6
	v_xor_b32_e32 v8, 8, v4
	v_cmp_lt_i32_e32 vcc, v8, v0
	s_waitcnt lgkmcnt(0)
	v_add_u32_e32 v6, v7, v6
	v_cndmask_b32_e32 v7, v4, v8, vcc
	v_lshlrev_b32_e32 v7, 2, v7
	;; [unrolled: 7-line block ×3, first 2 shown]
	ds_bpermute_b32 v7, v7, v6
	v_xor_b32_e32 v8, 32, v4
	v_cmp_lt_i32_e32 vcc, v8, v0
	v_cndmask_b32_e32 v0, v4, v8, vcc
	v_lshlrev_b32_e32 v0, 2, v0
	s_waitcnt lgkmcnt(0)
	v_add_u32_e32 v6, v7, v6
	ds_bpermute_b32 v0, v0, v6
	s_waitcnt lgkmcnt(0)
	v_add_u32_e32 v6, v0, v6
.LBB4_51:
	s_cmpk_lt_i32 s2, 0x41
	s_cbranch_scc1 .LBB4_59
; %bb.52:
	v_lshrrev_b32_e32 v0, 26, v5
	v_add_u32_e32 v7, v1, v0
	v_and_b32_e32 v0, 0xffffffc0, v7
	v_sub_u32_e32 v0, v1, v0
	v_cmp_eq_u32_e32 vcc, 0, v0
	s_and_saveexec_b64 s[4:5], vcc
	s_cbranch_execz .LBB4_54
; %bb.53:
	v_ashrrev_i32_e32 v7, 6, v7
	v_lshlrev_b32_e32 v7, 2, v7
	ds_write_b32 v7, v6 offset:128
.LBB4_54:
	s_or_b64 exec, exec, s[4:5]
	v_add_co_u32_e32 v8, vcc, 63, v1
	v_addc_co_u32_e32 v9, vcc, 0, v5, vcc
	s_mov_b64 s[4:5], 0x7f
	v_cmp_gt_u64_e32 vcc, s[4:5], v[8:9]
	s_waitcnt lgkmcnt(0)
	s_barrier
	s_and_saveexec_b64 s[4:5], vcc
	s_cbranch_execz .LBB4_58
; %bb.55:
	v_ashrrev_i32_e32 v1, 31, v0
	v_lshlrev_b64 v[6:7], 6, v[0:1]
	v_cmp_gt_i64_e32 vcc, s[2:3], v[6:7]
	v_mov_b32_e32 v1, s1
	s_and_saveexec_b64 s[2:3], vcc
	s_cbranch_execz .LBB4_57
; %bb.56:
	v_lshlrev_b32_e32 v0, 2, v0
	ds_read_b32 v1, v0 offset:128
.LBB4_57:
	s_or_b64 exec, exec, s[2:3]
	v_and_b32_e32 v0, 64, v4
	v_add_u32_e32 v0, 64, v0
	v_xor_b32_e32 v5, 1, v4
	v_cmp_lt_i32_e32 vcc, v5, v0
	v_cndmask_b32_e32 v5, v4, v5, vcc
	v_lshlrev_b32_e32 v5, 2, v5
	s_waitcnt lgkmcnt(0)
	ds_bpermute_b32 v5, v5, v1
	v_xor_b32_e32 v6, 2, v4
	v_cmp_lt_i32_e32 vcc, v6, v0
	s_waitcnt lgkmcnt(0)
	v_add_u32_e32 v1, v5, v1
	v_cndmask_b32_e32 v5, v4, v6, vcc
	v_lshlrev_b32_e32 v5, 2, v5
	ds_bpermute_b32 v5, v5, v1
	v_xor_b32_e32 v6, 4, v4
	v_cmp_lt_i32_e32 vcc, v6, v0
	s_waitcnt lgkmcnt(0)
	v_add_u32_e32 v1, v5, v1
	v_cndmask_b32_e32 v5, v4, v6, vcc
	v_lshlrev_b32_e32 v5, 2, v5
	ds_bpermute_b32 v5, v5, v1
	v_xor_b32_e32 v6, 8, v4
	v_cmp_lt_i32_e32 vcc, v6, v0
	v_cndmask_b32_e32 v0, v4, v6, vcc
	v_lshlrev_b32_e32 v0, 2, v0
	s_waitcnt lgkmcnt(0)
	v_add_u32_e32 v1, v5, v1
	ds_bpermute_b32 v0, v0, v1
	s_waitcnt lgkmcnt(0)
	v_add_u32_e32 v6, v0, v1
.LBB4_58:
	s_or_b64 exec, exec, s[4:5]
	s_barrier
.LBB4_59:
	v_sub_u32_e32 v0, 0, v3
	v_cmp_eq_u32_e32 vcc, v2, v0
	v_cmp_ne_u32_e64 s[2:3], s1, v6
	s_and_b64 s[2:3], vcc, s[2:3]
	s_and_saveexec_b64 s[4:5], s[2:3]
	s_cbranch_execz .LBB4_19
; %bb.60:
	s_mul_i32 s1, s11, s8
	s_add_i32 s0, s1, s0
	s_mul_i32 s0, s0, s10
	s_add_i32 s0, s0, s6
	s_ashr_i32 s1, s0, 31
	s_lshr_b32 s1, s1, 27
	s_add_i32 s1, s0, s1
	s_and_b32 s1, s1, 0xfffffe0
	s_sub_i32 s0, s0, s1
	s_lshl_b32 s0, s0, 4
	s_ashr_i32 s1, s0, 31
	s_lshl_b64 s[0:1], s[0:1], 2
	s_add_u32 s0, s14, s0
	s_addc_u32 s1, s15, s1
	v_pk_mov_b32 v[0:1], s[0:1], s[0:1] op_sel:[0,1]
	flat_atomic_add v[0:1], v6
	s_endpgm
.LBB4_61:
                                        ; implicit-def: $vgpr11
	s_branch .LBB4_22
.LBB4_62:
                                        ; implicit-def: $vgpr10
	s_branch .LBB4_36
.LBB4_63:
                                        ; implicit-def: $vgpr6
	s_branch .LBB4_50
	.section	.rodata,"a",@progbits
	.p2align	6, 0x0
	.amdhsa_kernel _ZN4RAJA6policy3hip4impl18forallp_hip_kernelINS1_8hip_execINS_17iteration_mapping11StridedLoopILm0EEENS_3hip11IndexGlobalILNS_9named_dimE0ELi256ELi0EEENS8_40AvoidDeviceMaxThreadOccupancyConcretizerINS8_34FractionOffsetOccupancyConcretizerINS_8FractionImLm1ELm1EEELln1EEEEELb1EEENS_9Iterators16numeric_iteratorIllPlEEZN8rajaperf5basic11REDUCE3_INT17runHipVariantRAJAILm256ENSN_13gpu_algorithm19block_atomic_helperENSN_11gpu_mapping40global_loop_occupancy_grid_stride_helperEEEvNSN_9VariantIDEEUllE_lNS_4expt15ForallParamPackIJEEES7_SB_TnNSt9enable_ifIXaaaasr3std10is_base_ofINS5_15StridedLoopBaseET4_EE5valuesr3std10is_base_ofINS5_15UnsizedLoopBaseES12_EE5valuegtsrT5_10block_sizeLi0EEmE4typeELm256EEEvT1_T0_T2_T3_
		.amdhsa_group_segment_fixed_size 192
		.amdhsa_private_segment_fixed_size 0
		.amdhsa_kernarg_size 384
		.amdhsa_user_sgpr_count 6
		.amdhsa_user_sgpr_private_segment_buffer 1
		.amdhsa_user_sgpr_dispatch_ptr 0
		.amdhsa_user_sgpr_queue_ptr 0
		.amdhsa_user_sgpr_kernarg_segment_ptr 1
		.amdhsa_user_sgpr_dispatch_id 0
		.amdhsa_user_sgpr_flat_scratch_init 0
		.amdhsa_user_sgpr_kernarg_preload_length 0
		.amdhsa_user_sgpr_kernarg_preload_offset 0
		.amdhsa_user_sgpr_private_segment_size 0
		.amdhsa_uses_dynamic_stack 0
		.amdhsa_system_sgpr_private_segment_wavefront_offset 0
		.amdhsa_system_sgpr_workgroup_id_x 1
		.amdhsa_system_sgpr_workgroup_id_y 1
		.amdhsa_system_sgpr_workgroup_id_z 1
		.amdhsa_system_sgpr_workgroup_info 0
		.amdhsa_system_vgpr_workitem_id 2
		.amdhsa_next_free_vgpr 23
		.amdhsa_next_free_sgpr 36
		.amdhsa_accum_offset 24
		.amdhsa_reserve_vcc 1
		.amdhsa_reserve_flat_scratch 0
		.amdhsa_float_round_mode_32 0
		.amdhsa_float_round_mode_16_64 0
		.amdhsa_float_denorm_mode_32 3
		.amdhsa_float_denorm_mode_16_64 3
		.amdhsa_dx10_clamp 1
		.amdhsa_ieee_mode 1
		.amdhsa_fp16_overflow 0
		.amdhsa_tg_split 0
		.amdhsa_exception_fp_ieee_invalid_op 0
		.amdhsa_exception_fp_denorm_src 0
		.amdhsa_exception_fp_ieee_div_zero 0
		.amdhsa_exception_fp_ieee_overflow 0
		.amdhsa_exception_fp_ieee_underflow 0
		.amdhsa_exception_fp_ieee_inexact 0
		.amdhsa_exception_int_div_zero 0
	.end_amdhsa_kernel
	.section	.text._ZN4RAJA6policy3hip4impl18forallp_hip_kernelINS1_8hip_execINS_17iteration_mapping11StridedLoopILm0EEENS_3hip11IndexGlobalILNS_9named_dimE0ELi256ELi0EEENS8_40AvoidDeviceMaxThreadOccupancyConcretizerINS8_34FractionOffsetOccupancyConcretizerINS_8FractionImLm1ELm1EEELln1EEEEELb1EEENS_9Iterators16numeric_iteratorIllPlEEZN8rajaperf5basic11REDUCE3_INT17runHipVariantRAJAILm256ENSN_13gpu_algorithm19block_atomic_helperENSN_11gpu_mapping40global_loop_occupancy_grid_stride_helperEEEvNSN_9VariantIDEEUllE_lNS_4expt15ForallParamPackIJEEES7_SB_TnNSt9enable_ifIXaaaasr3std10is_base_ofINS5_15StridedLoopBaseET4_EE5valuesr3std10is_base_ofINS5_15UnsizedLoopBaseES12_EE5valuegtsrT5_10block_sizeLi0EEmE4typeELm256EEEvT1_T0_T2_T3_,"axG",@progbits,_ZN4RAJA6policy3hip4impl18forallp_hip_kernelINS1_8hip_execINS_17iteration_mapping11StridedLoopILm0EEENS_3hip11IndexGlobalILNS_9named_dimE0ELi256ELi0EEENS8_40AvoidDeviceMaxThreadOccupancyConcretizerINS8_34FractionOffsetOccupancyConcretizerINS_8FractionImLm1ELm1EEELln1EEEEELb1EEENS_9Iterators16numeric_iteratorIllPlEEZN8rajaperf5basic11REDUCE3_INT17runHipVariantRAJAILm256ENSN_13gpu_algorithm19block_atomic_helperENSN_11gpu_mapping40global_loop_occupancy_grid_stride_helperEEEvNSN_9VariantIDEEUllE_lNS_4expt15ForallParamPackIJEEES7_SB_TnNSt9enable_ifIXaaaasr3std10is_base_ofINS5_15StridedLoopBaseET4_EE5valuesr3std10is_base_ofINS5_15UnsizedLoopBaseES12_EE5valuegtsrT5_10block_sizeLi0EEmE4typeELm256EEEvT1_T0_T2_T3_,comdat
.Lfunc_end4:
	.size	_ZN4RAJA6policy3hip4impl18forallp_hip_kernelINS1_8hip_execINS_17iteration_mapping11StridedLoopILm0EEENS_3hip11IndexGlobalILNS_9named_dimE0ELi256ELi0EEENS8_40AvoidDeviceMaxThreadOccupancyConcretizerINS8_34FractionOffsetOccupancyConcretizerINS_8FractionImLm1ELm1EEELln1EEEEELb1EEENS_9Iterators16numeric_iteratorIllPlEEZN8rajaperf5basic11REDUCE3_INT17runHipVariantRAJAILm256ENSN_13gpu_algorithm19block_atomic_helperENSN_11gpu_mapping40global_loop_occupancy_grid_stride_helperEEEvNSN_9VariantIDEEUllE_lNS_4expt15ForallParamPackIJEEES7_SB_TnNSt9enable_ifIXaaaasr3std10is_base_ofINS5_15StridedLoopBaseET4_EE5valuesr3std10is_base_ofINS5_15UnsizedLoopBaseES12_EE5valuegtsrT5_10block_sizeLi0EEmE4typeELm256EEEvT1_T0_T2_T3_, .Lfunc_end4-_ZN4RAJA6policy3hip4impl18forallp_hip_kernelINS1_8hip_execINS_17iteration_mapping11StridedLoopILm0EEENS_3hip11IndexGlobalILNS_9named_dimE0ELi256ELi0EEENS8_40AvoidDeviceMaxThreadOccupancyConcretizerINS8_34FractionOffsetOccupancyConcretizerINS_8FractionImLm1ELm1EEELln1EEEEELb1EEENS_9Iterators16numeric_iteratorIllPlEEZN8rajaperf5basic11REDUCE3_INT17runHipVariantRAJAILm256ENSN_13gpu_algorithm19block_atomic_helperENSN_11gpu_mapping40global_loop_occupancy_grid_stride_helperEEEvNSN_9VariantIDEEUllE_lNS_4expt15ForallParamPackIJEEES7_SB_TnNSt9enable_ifIXaaaasr3std10is_base_ofINS5_15StridedLoopBaseET4_EE5valuesr3std10is_base_ofINS5_15UnsizedLoopBaseES12_EE5valuegtsrT5_10block_sizeLi0EEmE4typeELm256EEEvT1_T0_T2_T3_
                                        ; -- End function
	.section	.AMDGPU.csdata,"",@progbits
; Kernel info:
; codeLenInByte = 4516
; NumSgprs: 40
; NumVgprs: 23
; NumAgprs: 0
; TotalNumVgprs: 23
; ScratchSize: 0
; MemoryBound: 0
; FloatMode: 240
; IeeeMode: 1
; LDSByteSize: 192 bytes/workgroup (compile time only)
; SGPRBlocks: 4
; VGPRBlocks: 2
; NumSGPRsForWavesPerEU: 40
; NumVGPRsForWavesPerEU: 23
; AccumOffset: 24
; Occupancy: 8
; WaveLimiterHint : 1
; COMPUTE_PGM_RSRC2:SCRATCH_EN: 0
; COMPUTE_PGM_RSRC2:USER_SGPR: 6
; COMPUTE_PGM_RSRC2:TRAP_HANDLER: 0
; COMPUTE_PGM_RSRC2:TGID_X_EN: 1
; COMPUTE_PGM_RSRC2:TGID_Y_EN: 1
; COMPUTE_PGM_RSRC2:TGID_Z_EN: 1
; COMPUTE_PGM_RSRC2:TIDIG_COMP_CNT: 2
; COMPUTE_PGM_RSRC3_GFX90A:ACCUM_OFFSET: 5
; COMPUTE_PGM_RSRC3_GFX90A:TG_SPLIT: 0
	.section	.text._ZN4RAJA6policy3hip4impl18forallp_hip_kernelINS1_8hip_execINS_17iteration_mapping11StridedLoopILm0EEENS_3hip11IndexGlobalILNS_9named_dimE0ELi256ELi0EEENS8_40AvoidDeviceMaxThreadOccupancyConcretizerINS8_34FractionOffsetOccupancyConcretizerINS_8FractionImLm1ELm1EEELln1EEEEELb1EEENS_9Iterators16numeric_iteratorIllPlEEZN8rajaperf5basic11REDUCE3_INT17runHipVariantRAJAILm256ENSN_13gpu_algorithm19block_device_helperENSN_11gpu_mapping40global_loop_occupancy_grid_stride_helperEEEvNSN_9VariantIDEEUllE_lNS_4expt15ForallParamPackIJEEES7_SB_TnNSt9enable_ifIXaaaasr3std10is_base_ofINS5_15StridedLoopBaseET4_EE5valuesr3std10is_base_ofINS5_15UnsizedLoopBaseES12_EE5valuegtsrT5_10block_sizeLi0EEmE4typeELm256EEEvT1_T0_T2_T3_,"axG",@progbits,_ZN4RAJA6policy3hip4impl18forallp_hip_kernelINS1_8hip_execINS_17iteration_mapping11StridedLoopILm0EEENS_3hip11IndexGlobalILNS_9named_dimE0ELi256ELi0EEENS8_40AvoidDeviceMaxThreadOccupancyConcretizerINS8_34FractionOffsetOccupancyConcretizerINS_8FractionImLm1ELm1EEELln1EEEEELb1EEENS_9Iterators16numeric_iteratorIllPlEEZN8rajaperf5basic11REDUCE3_INT17runHipVariantRAJAILm256ENSN_13gpu_algorithm19block_device_helperENSN_11gpu_mapping40global_loop_occupancy_grid_stride_helperEEEvNSN_9VariantIDEEUllE_lNS_4expt15ForallParamPackIJEEES7_SB_TnNSt9enable_ifIXaaaasr3std10is_base_ofINS5_15StridedLoopBaseET4_EE5valuesr3std10is_base_ofINS5_15UnsizedLoopBaseES12_EE5valuegtsrT5_10block_sizeLi0EEmE4typeELm256EEEvT1_T0_T2_T3_,comdat
	.protected	_ZN4RAJA6policy3hip4impl18forallp_hip_kernelINS1_8hip_execINS_17iteration_mapping11StridedLoopILm0EEENS_3hip11IndexGlobalILNS_9named_dimE0ELi256ELi0EEENS8_40AvoidDeviceMaxThreadOccupancyConcretizerINS8_34FractionOffsetOccupancyConcretizerINS_8FractionImLm1ELm1EEELln1EEEEELb1EEENS_9Iterators16numeric_iteratorIllPlEEZN8rajaperf5basic11REDUCE3_INT17runHipVariantRAJAILm256ENSN_13gpu_algorithm19block_device_helperENSN_11gpu_mapping40global_loop_occupancy_grid_stride_helperEEEvNSN_9VariantIDEEUllE_lNS_4expt15ForallParamPackIJEEES7_SB_TnNSt9enable_ifIXaaaasr3std10is_base_ofINS5_15StridedLoopBaseET4_EE5valuesr3std10is_base_ofINS5_15UnsizedLoopBaseES12_EE5valuegtsrT5_10block_sizeLi0EEmE4typeELm256EEEvT1_T0_T2_T3_ ; -- Begin function _ZN4RAJA6policy3hip4impl18forallp_hip_kernelINS1_8hip_execINS_17iteration_mapping11StridedLoopILm0EEENS_3hip11IndexGlobalILNS_9named_dimE0ELi256ELi0EEENS8_40AvoidDeviceMaxThreadOccupancyConcretizerINS8_34FractionOffsetOccupancyConcretizerINS_8FractionImLm1ELm1EEELln1EEEEELb1EEENS_9Iterators16numeric_iteratorIllPlEEZN8rajaperf5basic11REDUCE3_INT17runHipVariantRAJAILm256ENSN_13gpu_algorithm19block_device_helperENSN_11gpu_mapping40global_loop_occupancy_grid_stride_helperEEEvNSN_9VariantIDEEUllE_lNS_4expt15ForallParamPackIJEEES7_SB_TnNSt9enable_ifIXaaaasr3std10is_base_ofINS5_15StridedLoopBaseET4_EE5valuesr3std10is_base_ofINS5_15UnsizedLoopBaseES12_EE5valuegtsrT5_10block_sizeLi0EEmE4typeELm256EEEvT1_T0_T2_T3_
	.globl	_ZN4RAJA6policy3hip4impl18forallp_hip_kernelINS1_8hip_execINS_17iteration_mapping11StridedLoopILm0EEENS_3hip11IndexGlobalILNS_9named_dimE0ELi256ELi0EEENS8_40AvoidDeviceMaxThreadOccupancyConcretizerINS8_34FractionOffsetOccupancyConcretizerINS_8FractionImLm1ELm1EEELln1EEEEELb1EEENS_9Iterators16numeric_iteratorIllPlEEZN8rajaperf5basic11REDUCE3_INT17runHipVariantRAJAILm256ENSN_13gpu_algorithm19block_device_helperENSN_11gpu_mapping40global_loop_occupancy_grid_stride_helperEEEvNSN_9VariantIDEEUllE_lNS_4expt15ForallParamPackIJEEES7_SB_TnNSt9enable_ifIXaaaasr3std10is_base_ofINS5_15StridedLoopBaseET4_EE5valuesr3std10is_base_ofINS5_15UnsizedLoopBaseES12_EE5valuegtsrT5_10block_sizeLi0EEmE4typeELm256EEEvT1_T0_T2_T3_
	.p2align	8
	.type	_ZN4RAJA6policy3hip4impl18forallp_hip_kernelINS1_8hip_execINS_17iteration_mapping11StridedLoopILm0EEENS_3hip11IndexGlobalILNS_9named_dimE0ELi256ELi0EEENS8_40AvoidDeviceMaxThreadOccupancyConcretizerINS8_34FractionOffsetOccupancyConcretizerINS_8FractionImLm1ELm1EEELln1EEEEELb1EEENS_9Iterators16numeric_iteratorIllPlEEZN8rajaperf5basic11REDUCE3_INT17runHipVariantRAJAILm256ENSN_13gpu_algorithm19block_device_helperENSN_11gpu_mapping40global_loop_occupancy_grid_stride_helperEEEvNSN_9VariantIDEEUllE_lNS_4expt15ForallParamPackIJEEES7_SB_TnNSt9enable_ifIXaaaasr3std10is_base_ofINS5_15StridedLoopBaseET4_EE5valuesr3std10is_base_ofINS5_15UnsizedLoopBaseES12_EE5valuegtsrT5_10block_sizeLi0EEmE4typeELm256EEEvT1_T0_T2_T3_,@function
_ZN4RAJA6policy3hip4impl18forallp_hip_kernelINS1_8hip_execINS_17iteration_mapping11StridedLoopILm0EEENS_3hip11IndexGlobalILNS_9named_dimE0ELi256ELi0EEENS8_40AvoidDeviceMaxThreadOccupancyConcretizerINS8_34FractionOffsetOccupancyConcretizerINS_8FractionImLm1ELm1EEELln1EEEEELb1EEENS_9Iterators16numeric_iteratorIllPlEEZN8rajaperf5basic11REDUCE3_INT17runHipVariantRAJAILm256ENSN_13gpu_algorithm19block_device_helperENSN_11gpu_mapping40global_loop_occupancy_grid_stride_helperEEEvNSN_9VariantIDEEUllE_lNS_4expt15ForallParamPackIJEEES7_SB_TnNSt9enable_ifIXaaaasr3std10is_base_ofINS5_15StridedLoopBaseET4_EE5valuesr3std10is_base_ofINS5_15UnsizedLoopBaseES12_EE5valuegtsrT5_10block_sizeLi0EEmE4typeELm256EEEvT1_T0_T2_T3_: ; @_ZN4RAJA6policy3hip4impl18forallp_hip_kernelINS1_8hip_execINS_17iteration_mapping11StridedLoopILm0EEENS_3hip11IndexGlobalILNS_9named_dimE0ELi256ELi0EEENS8_40AvoidDeviceMaxThreadOccupancyConcretizerINS8_34FractionOffsetOccupancyConcretizerINS_8FractionImLm1ELm1EEELln1EEEEELb1EEENS_9Iterators16numeric_iteratorIllPlEEZN8rajaperf5basic11REDUCE3_INT17runHipVariantRAJAILm256ENSN_13gpu_algorithm19block_device_helperENSN_11gpu_mapping40global_loop_occupancy_grid_stride_helperEEEvNSN_9VariantIDEEUllE_lNS_4expt15ForallParamPackIJEEES7_SB_TnNSt9enable_ifIXaaaasr3std10is_base_ofINS5_15StridedLoopBaseET4_EE5valuesr3std10is_base_ofINS5_15UnsizedLoopBaseES12_EE5valuegtsrT5_10block_sizeLi0EEmE4typeELm256EEEvT1_T0_T2_T3_
; %bb.0:
	s_load_dword s3, s[4:5], 0x14
	s_load_dwordx4 s[20:23], s[4:5], 0x30
	s_load_dwordx2 s[10:11], s[4:5], 0x40
	s_load_dword s9, s[4:5], 0x4c
	s_load_dwordx4 s[12:15], s[4:5], 0x98
	s_load_dword s33, s[4:5], 0x7c
	s_mov_b32 s25, 0
	s_mov_b32 s2, s7
	;; [unrolled: 1-line block ×3, first 2 shown]
	v_and_b32_e32 v1, 0x3ff, v0
	s_lshl_b64 s[0:1], s[6:7], 8
	v_or_b32_e32 v2, s0, v1
	v_mov_b32_e32 v3, s1
	s_waitcnt lgkmcnt(0)
	v_cmp_gt_i64_e32 vcc, s[14:15], v[2:3]
	v_mov_b32_e32 v10, s33
	v_mov_b32_e32 v9, s9
	;; [unrolled: 1-line block ×3, first 2 shown]
	s_and_saveexec_b64 s[16:17], vcc
	s_cbranch_execz .LBB5_16
; %bb.1:
	s_load_dword s24, s[4:5], 0xb0
	v_mov_b32_e32 v4, s15
	s_waitcnt lgkmcnt(0)
	s_lshl_b64 s[18:19], s[24:25], 8
	v_mov_b32_e32 v5, s19
	v_add_co_u32_e32 v6, vcc, s18, v2
	v_addc_co_u32_e32 v7, vcc, v3, v5, vcc
	v_cmp_gt_i64_e32 vcc, s[14:15], v[6:7]
	v_cndmask_b32_e32 v8, v7, v4, vcc
	v_mov_b32_e32 v4, s14
	v_cndmask_b32_e32 v5, v6, v4, vcc
	v_cndmask_b32_e64 v4, 0, 1, vcc
	v_add_co_u32_e32 v6, vcc, v6, v4
	v_addc_co_u32_e32 v7, vcc, 0, v7, vcc
	v_sub_co_u32_e32 v5, vcc, v5, v6
	v_subb_co_u32_e32 v8, vcc, v8, v7, vcc
	v_or_b32_e32 v7, s19, v8
	v_mov_b32_e32 v6, 0
	v_cmp_ne_u64_e32 vcc, 0, v[6:7]
                                        ; implicit-def: $vgpr6_vgpr7
	s_and_saveexec_b64 s[0:1], vcc
	s_xor_b64 s[26:27], exec, s[0:1]
	s_cbranch_execz .LBB5_3
; %bb.2:
	v_cvt_f32_u32_e32 v6, s18
	v_cvt_f32_ubyte0_e32 v7, s19
	s_sub_u32 s0, 0, s18
	s_subb_u32 s1, 0, s19
	v_madmk_f32 v6, v7, 0x4f800000, v6
	v_rcp_f32_e32 v6, v6
	v_mul_f32_e32 v6, 0x5f7ffffc, v6
	v_mul_f32_e32 v7, 0x2f800000, v6
	v_trunc_f32_e32 v7, v7
	v_madmk_f32 v6, v7, 0xcf800000, v6
	v_cvt_u32_f32_e32 v7, v7
	v_cvt_u32_f32_e32 v6, v6
	v_mul_lo_u32 v9, s0, v7
	v_mul_hi_u32 v11, s0, v6
	v_mul_lo_u32 v10, s1, v6
	v_add_u32_e32 v9, v11, v9
	v_mul_lo_u32 v12, s0, v6
	v_add_u32_e32 v9, v9, v10
	v_mul_hi_u32 v11, v6, v12
	v_mul_lo_u32 v13, v6, v9
	v_mul_hi_u32 v10, v6, v9
	v_add_co_u32_e32 v11, vcc, v11, v13
	v_addc_co_u32_e32 v10, vcc, 0, v10, vcc
	v_mul_hi_u32 v14, v7, v12
	v_mul_lo_u32 v12, v7, v12
	v_add_co_u32_e32 v11, vcc, v11, v12
	v_mul_hi_u32 v13, v7, v9
	v_addc_co_u32_e32 v10, vcc, v10, v14, vcc
	v_addc_co_u32_e32 v11, vcc, 0, v13, vcc
	v_mul_lo_u32 v9, v7, v9
	v_add_co_u32_e32 v9, vcc, v10, v9
	v_addc_co_u32_e32 v10, vcc, 0, v11, vcc
	v_add_co_u32_e32 v6, vcc, v6, v9
	v_addc_co_u32_e32 v7, vcc, v7, v10, vcc
	v_mul_lo_u32 v9, s0, v7
	v_mul_hi_u32 v10, s0, v6
	v_add_u32_e32 v9, v10, v9
	v_mul_lo_u32 v10, s1, v6
	v_add_u32_e32 v9, v9, v10
	v_mul_lo_u32 v11, s0, v6
	v_mul_hi_u32 v12, v7, v11
	v_mul_lo_u32 v13, v7, v11
	v_mul_lo_u32 v15, v6, v9
	v_mul_hi_u32 v11, v6, v11
	v_mul_hi_u32 v14, v6, v9
	v_add_co_u32_e32 v11, vcc, v11, v15
	v_addc_co_u32_e32 v14, vcc, 0, v14, vcc
	v_add_co_u32_e32 v11, vcc, v11, v13
	v_mul_hi_u32 v10, v7, v9
	v_addc_co_u32_e32 v11, vcc, v14, v12, vcc
	v_addc_co_u32_e32 v10, vcc, 0, v10, vcc
	v_mul_lo_u32 v9, v7, v9
	v_add_co_u32_e32 v9, vcc, v11, v9
	v_addc_co_u32_e32 v10, vcc, 0, v10, vcc
	v_add_co_u32_e32 v9, vcc, v6, v9
	v_addc_co_u32_e32 v10, vcc, v7, v10, vcc
	v_mad_u64_u32 v[6:7], s[0:1], v5, v10, 0
	v_mul_hi_u32 v11, v5, v9
	v_add_co_u32_e32 v12, vcc, v11, v6
	v_addc_co_u32_e32 v13, vcc, 0, v7, vcc
	v_mad_u64_u32 v[6:7], s[0:1], v8, v10, 0
	v_mad_u64_u32 v[10:11], s[0:1], v8, v9, 0
	v_add_co_u32_e32 v9, vcc, v12, v10
	v_addc_co_u32_e32 v9, vcc, v13, v11, vcc
	v_addc_co_u32_e32 v7, vcc, 0, v7, vcc
	v_add_co_u32_e32 v9, vcc, v9, v6
	v_addc_co_u32_e32 v10, vcc, 0, v7, vcc
	v_mul_lo_u32 v11, s19, v9
	v_mul_lo_u32 v12, s18, v10
	v_mad_u64_u32 v[6:7], s[0:1], s18, v9, 0
	v_add3_u32 v7, v7, v12, v11
	v_sub_u32_e32 v11, v8, v7
	v_mov_b32_e32 v12, s19
	v_sub_co_u32_e32 v5, vcc, v5, v6
	v_subb_co_u32_e64 v6, s[0:1], v11, v12, vcc
	v_subrev_co_u32_e64 v11, s[0:1], s18, v5
	v_subbrev_co_u32_e64 v6, s[0:1], 0, v6, s[0:1]
	v_cmp_le_u32_e64 s[0:1], s19, v6
	v_cndmask_b32_e64 v12, 0, -1, s[0:1]
	v_cmp_le_u32_e64 s[0:1], s18, v11
	v_cndmask_b32_e64 v11, 0, -1, s[0:1]
	v_cmp_eq_u32_e64 s[0:1], s19, v6
	v_cndmask_b32_e64 v6, v12, v11, s[0:1]
	v_add_co_u32_e64 v11, s[0:1], 2, v9
	v_subb_co_u32_e32 v7, vcc, v8, v7, vcc
	v_addc_co_u32_e64 v12, s[0:1], 0, v10, s[0:1]
	v_cmp_le_u32_e32 vcc, s19, v7
	v_add_co_u32_e64 v13, s[0:1], 1, v9
	v_cndmask_b32_e64 v8, 0, -1, vcc
	v_cmp_le_u32_e32 vcc, s18, v5
	v_addc_co_u32_e64 v14, s[0:1], 0, v10, s[0:1]
	v_cndmask_b32_e64 v5, 0, -1, vcc
	v_cmp_eq_u32_e32 vcc, s19, v7
	v_cmp_ne_u32_e64 s[0:1], 0, v6
	v_cndmask_b32_e32 v5, v8, v5, vcc
	v_cndmask_b32_e64 v6, v14, v12, s[0:1]
	v_cmp_ne_u32_e32 vcc, 0, v5
	v_cndmask_b32_e64 v5, v13, v11, s[0:1]
	v_cndmask_b32_e32 v7, v10, v6, vcc
	v_cndmask_b32_e32 v6, v9, v5, vcc
                                        ; implicit-def: $vgpr5
.LBB5_3:
	s_andn2_saveexec_b64 s[0:1], s[26:27]
	s_cbranch_execz .LBB5_5
; %bb.4:
	v_cvt_f32_u32_e32 v6, s18
	s_sub_i32 s26, 0, s18
	v_rcp_iflag_f32_e32 v6, v6
	v_mul_f32_e32 v6, 0x4f7ffffe, v6
	v_cvt_u32_f32_e32 v6, v6
	v_mul_lo_u32 v7, s26, v6
	v_mul_hi_u32 v7, v6, v7
	v_add_u32_e32 v6, v6, v7
	v_mul_hi_u32 v6, v5, v6
	v_mul_lo_u32 v7, v6, s18
	v_sub_u32_e32 v5, v5, v7
	v_add_u32_e32 v8, 1, v6
	v_subrev_u32_e32 v7, s18, v5
	v_cmp_le_u32_e32 vcc, s18, v5
	v_cndmask_b32_e32 v5, v5, v7, vcc
	v_cndmask_b32_e32 v6, v6, v8, vcc
	v_add_u32_e32 v7, 1, v6
	v_cmp_le_u32_e32 vcc, s18, v5
	v_cndmask_b32_e32 v6, v6, v7, vcc
	v_mov_b32_e32 v7, 0
.LBB5_5:
	s_or_b64 exec, exec, s[0:1]
	v_add_co_u32_e32 v4, vcc, v6, v4
	v_addc_co_u32_e32 v5, vcc, 0, v7, vcc
	v_add_co_u32_e32 v4, vcc, 1, v4
	v_addc_co_u32_e32 v5, vcc, 0, v5, vcc
	v_cmp_lt_u64_e32 vcc, 1, v[4:5]
	s_mov_b64 s[30:31], 0
                                        ; implicit-def: $vgpr8
                                        ; implicit-def: $vgpr9
                                        ; implicit-def: $vgpr10
                                        ; implicit-def: $sgpr0_sgpr1
                                        ; implicit-def: $sgpr26_sgpr27
	s_and_saveexec_b64 s[28:29], vcc
	s_xor_b64 s[28:29], exec, s[28:29]
	s_cbranch_execz .LBB5_9
; %bb.6:
	s_lshl_b64 s[26:27], s[6:7], 10
	s_lshl_b64 s[0:1], s[12:13], 2
	s_add_u32 s7, s26, s0
	s_addc_u32 s26, s27, s1
	s_add_u32 s7, s20, s7
	v_lshlrev_b32_e32 v8, 2, v1
	s_addc_u32 s26, s21, s26
	v_and_b32_e32 v6, -2, v4
	v_mov_b32_e32 v7, v5
	v_mov_b32_e32 v9, s26
	v_add_co_u32_e32 v8, vcc, s7, v8
	s_lshl_b64 s[30:31], s[24:25], 11
	s_lshl_b64 s[26:27], s[24:25], 10
	v_mov_b32_e32 v12, 0
	v_addc_co_u32_e32 v9, vcc, 0, v9, vcc
	s_mov_b64 s[34:35], 0
	v_mov_b32_e32 v13, s33
	v_mov_b32_e32 v14, s9
	v_mov_b32_e32 v15, s3
	v_mov_b32_e32 v18, s27
	v_mov_b32_e32 v19, s31
	v_pk_mov_b32 v[10:11], v[6:7], v[6:7] op_sel:[0,1]
	v_mov_b32_e32 v16, s33
	v_mov_b32_e32 v17, s9
.LBB5_7:                                ; =>This Inner Loop Header: Depth=1
	v_add_co_u32_e32 v20, vcc, s26, v8
	v_addc_co_u32_e32 v21, vcc, v9, v18, vcc
	global_load_dword v22, v[8:9], off
	v_add_co_u32_e32 v10, vcc, -2, v10
	global_load_dword v20, v[20:21], off
	v_addc_co_u32_e32 v11, vcc, -1, v11, vcc
	v_add_co_u32_e32 v8, vcc, s30, v8
	v_addc_co_u32_e32 v9, vcc, v9, v19, vcc
	v_cmp_eq_u64_e32 vcc, 0, v[10:11]
	s_or_b64 s[34:35], vcc, s[34:35]
	s_waitcnt vmcnt(1)
	v_add_u32_e32 v15, v22, v15
	v_min_i32_e32 v14, v22, v14
	v_max_i32_e32 v13, v13, v22
	s_waitcnt vmcnt(0)
	v_add_u32_e32 v12, v20, v12
	v_min_i32_e32 v17, v20, v17
	v_max_i32_e32 v16, v16, v20
	s_andn2_b64 exec, exec, s[34:35]
	s_cbranch_execnz .LBB5_7
; %bb.8:
	s_or_b64 exec, exec, s[34:35]
	v_mad_u64_u32 v[2:3], s[30:31], v6, s18, v[2:3]
	v_mul_lo_u32 v8, v6, s19
	v_mul_lo_u32 v9, v7, s18
	v_cmp_ne_u64_e32 vcc, v[4:5], v[6:7]
	v_add3_u32 v3, v9, v3, v8
	v_max_i32_e32 v10, v13, v16
	v_min_i32_e32 v9, v14, v17
	v_add_u32_e32 v8, v15, v12
	s_and_b64 s[30:31], vcc, exec
.LBB5_9:
	s_or_saveexec_b64 s[28:29], s[28:29]
	v_pk_mov_b32 v[6:7], s[0:1], s[0:1] op_sel:[0,1]
	v_pk_mov_b32 v[4:5], s[26:27], s[26:27] op_sel:[0,1]
	s_xor_b64 exec, exec, s[28:29]
; %bb.10:
	s_lshl_b64 s[0:1], s[12:13], 2
	s_lshl_b64 s[12:13], s[24:25], 10
	v_mov_b32_e32 v8, s3
	v_mov_b32_e32 v9, s9
	;; [unrolled: 1-line block ×3, first 2 shown]
	v_pk_mov_b32 v[6:7], s[0:1], s[0:1] op_sel:[0,1]
	v_pk_mov_b32 v[4:5], s[12:13], s[12:13] op_sel:[0,1]
	s_or_b64 s[30:31], s[30:31], exec
; %bb.11:
	s_or_b64 exec, exec, s[28:29]
	s_and_saveexec_b64 s[0:1], s[30:31]
	s_cbranch_execz .LBB5_15
; %bb.12:
	v_lshlrev_b64 v[12:13], 2, v[2:3]
	v_add_co_u32_e32 v6, vcc, v12, v6
	v_addc_co_u32_e32 v7, vcc, v13, v7, vcc
	v_mov_b32_e32 v11, s21
	v_add_co_u32_e32 v6, vcc, s20, v6
	v_addc_co_u32_e32 v7, vcc, v11, v7, vcc
	s_mov_b64 s[12:13], 0
	v_mov_b32_e32 v11, s19
.LBB5_13:                               ; =>This Inner Loop Header: Depth=1
	global_load_dword v12, v[6:7], off
	v_add_co_u32_e32 v6, vcc, v6, v4
	v_addc_co_u32_e32 v7, vcc, v7, v5, vcc
	v_add_co_u32_e32 v2, vcc, s18, v2
	v_addc_co_u32_e32 v3, vcc, v3, v11, vcc
	v_cmp_le_i64_e32 vcc, s[14:15], v[2:3]
	s_or_b64 s[12:13], vcc, s[12:13]
	s_waitcnt vmcnt(0)
	v_add_u32_e32 v8, v12, v8
	v_min_i32_e32 v9, v12, v9
	v_max_i32_e32 v10, v10, v12
	s_andn2_b64 exec, exec, s[12:13]
	s_cbranch_execnz .LBB5_13
; %bb.14:
	s_or_b64 exec, exec, s[12:13]
.LBB5_15:
	s_or_b64 exec, exec, s[0:1]
.LBB5_16:
	s_or_b64 exec, exec, s[16:17]
	s_load_dwordx4 s[12:15], s[4:5], 0x0
	s_load_dwordx4 s[16:19], s[4:5], 0x18
	;; [unrolled: 1-line block ×5, first 2 shown]
	s_waitcnt lgkmcnt(0)
	s_cmp_lg_u64 s[28:29], 0
	s_cbranch_scc0 .LBB5_20
; %bb.17:
	s_cmp_lg_u64 s[22:23], 0
	s_cbranch_scc0 .LBB5_57
.LBB5_18:
	s_cmp_lg_u64 s[12:13], 0
	s_cbranch_scc0 .LBB5_94
.LBB5_19:
	s_endpgm
.LBB5_20:
	s_load_dwordx2 s[0:1], s[4:5], 0xb0
	s_add_u32 s7, s4, 0xb0
	v_mov_b32_e32 v2, 0
	global_load_dword v3, v2, s[4:5] offset:190
	s_addc_u32 s21, s5, 0
	s_waitcnt lgkmcnt(0)
	s_cmp_lt_u32 s6, s0
	s_cselect_b32 s20, 12, 18
	s_add_u32 s20, s7, s20
	s_addc_u32 s21, s21, 0
	global_load_ushort v2, v2, s[20:21]
	v_bfe_u32 v4, v0, 10, 10
	v_bfe_u32 v5, v0, 20, 10
	s_mov_b32 s29, 0
	s_waitcnt vmcnt(1)
	v_readfirstlane_b32 s7, v3
	s_lshr_b32 s20, s7, 16
	s_and_b32 s7, s7, 0xffff
	s_waitcnt vmcnt(0)
	v_readfirstlane_b32 s21, v2
	s_mul_i32 s7, s7, s21
	s_mul_i32 s20, s7, s20
	v_mul_u32_u24_e32 v3, v4, v2
	v_mul_lo_u32 v2, s7, v5
	s_ashr_i32 s21, s20, 31
	s_and_b32 s28, s20, 63
	v_add3_u32 v7, v3, v1, v2
	s_cmp_lg_u64 s[28:29], 0
	v_mbcnt_lo_u32_b32 v2, -1, 0
	s_cselect_b64 s[34:35], -1, 0
	s_cmp_eq_u64 s[28:29], 0
	v_mbcnt_hi_u32_b32 v6, -1, v2
	s_cbranch_scc1 .LBB5_130
; %bb.21:
	v_and_b32_e32 v2, 64, v6
	v_xor_b32_e32 v3, 1, v7
	v_and_or_b32 v4, v3, 63, v2
	v_lshlrev_b32_e32 v4, 2, v4
	ds_bpermute_b32 v4, v4, v10
	v_xor_b32_e32 v5, 2, v7
	v_and_or_b32 v11, v5, 63, v2
	v_cmp_gt_i32_e32 vcc, s20, v3
	s_waitcnt lgkmcnt(0)
	v_max_i32_e32 v4, v10, v4
	v_cndmask_b32_e32 v3, v10, v4, vcc
	v_lshlrev_b32_e32 v4, 2, v11
	ds_bpermute_b32 v4, v4, v3
	v_xor_b32_e32 v11, 4, v7
	v_and_or_b32 v12, v11, 63, v2
	v_cmp_gt_i32_e32 vcc, s20, v5
	v_xor_b32_e32 v5, 8, v7
	s_waitcnt lgkmcnt(0)
	v_max_i32_e32 v4, v3, v4
	v_cndmask_b32_e32 v3, v3, v4, vcc
	v_lshlrev_b32_e32 v4, 2, v12
	ds_bpermute_b32 v4, v4, v3
	v_and_or_b32 v12, v5, 63, v2
	v_cmp_gt_i32_e32 vcc, s20, v11
	v_xor_b32_e32 v11, 16, v7
	s_waitcnt lgkmcnt(0)
	v_max_i32_e32 v4, v3, v4
	v_cndmask_b32_e32 v3, v3, v4, vcc
	v_lshlrev_b32_e32 v4, 2, v12
	ds_bpermute_b32 v4, v4, v3
	v_and_or_b32 v12, v11, 63, v2
	v_cmp_gt_i32_e32 vcc, s20, v5
	v_xor_b32_e32 v5, 32, v7
	v_and_or_b32 v2, v5, 63, v2
	s_waitcnt lgkmcnt(0)
	v_max_i32_e32 v4, v3, v4
	v_cndmask_b32_e32 v3, v3, v4, vcc
	v_lshlrev_b32_e32 v4, 2, v12
	ds_bpermute_b32 v4, v4, v3
	v_cmp_gt_i32_e32 vcc, s20, v11
	v_lshlrev_b32_e32 v2, 2, v2
	s_waitcnt lgkmcnt(0)
	v_max_i32_e32 v4, v3, v4
	v_cndmask_b32_e32 v3, v3, v4, vcc
	ds_bpermute_b32 v2, v2, v3
	v_cmp_gt_i32_e32 vcc, s20, v5
	s_waitcnt lgkmcnt(0)
	v_max_i32_e32 v2, v3, v2
	v_cndmask_b32_e32 v11, v3, v2, vcc
	s_cbranch_execnz .LBB5_23
.LBB5_22:
	v_and_b32_e32 v2, 64, v6
	v_add_u32_e32 v2, 64, v2
	v_xor_b32_e32 v3, 1, v6
	v_cmp_lt_i32_e32 vcc, v3, v2
	v_cndmask_b32_e32 v3, v6, v3, vcc
	v_lshlrev_b32_e32 v3, 2, v3
	ds_bpermute_b32 v3, v3, v10
	v_xor_b32_e32 v4, 2, v6
	v_cmp_lt_i32_e32 vcc, v4, v2
	v_cndmask_b32_e32 v4, v6, v4, vcc
	v_lshlrev_b32_e32 v4, 2, v4
	s_waitcnt lgkmcnt(0)
	v_max_i32_e32 v3, v10, v3
	ds_bpermute_b32 v4, v4, v3
	v_xor_b32_e32 v5, 4, v6
	v_cmp_lt_i32_e32 vcc, v5, v2
	s_waitcnt lgkmcnt(0)
	v_max_i32_e32 v3, v3, v4
	v_cndmask_b32_e32 v4, v6, v5, vcc
	v_lshlrev_b32_e32 v4, 2, v4
	ds_bpermute_b32 v4, v4, v3
	v_xor_b32_e32 v5, 8, v6
	v_cmp_lt_i32_e32 vcc, v5, v2
	s_waitcnt lgkmcnt(0)
	v_max_i32_e32 v3, v3, v4
	v_cndmask_b32_e32 v4, v6, v5, vcc
	v_lshlrev_b32_e32 v4, 2, v4
	;; [unrolled: 7-line block ×3, first 2 shown]
	ds_bpermute_b32 v4, v4, v3
	v_xor_b32_e32 v5, 32, v6
	v_cmp_lt_i32_e32 vcc, v5, v2
	v_cndmask_b32_e32 v2, v6, v5, vcc
	v_lshlrev_b32_e32 v2, 2, v2
	s_waitcnt lgkmcnt(0)
	v_max_i32_e32 v3, v3, v4
	ds_bpermute_b32 v2, v2, v3
	s_waitcnt lgkmcnt(0)
	v_max_i32_e32 v11, v3, v2
.LBB5_23:
	v_ashrrev_i32_e32 v12, 31, v7
	s_load_dword s7, s[4:5], 0xb8
	v_lshrrev_b32_e32 v2, 26, v12
	v_add_u32_e32 v2, v7, v2
	v_ashrrev_i32_e32 v13, 6, v2
	v_and_b32_e32 v2, 0xffffffc0, v2
	v_sub_u32_e32 v2, v7, v2
	s_cmp_gt_i32 s20, 64
	s_cselect_b64 s[40:41], -1, 0
	s_cmpk_lt_i32 s20, 0x41
	v_ashrrev_i32_e32 v3, 31, v2
	s_cbranch_scc1 .LBB5_31
; %bb.24:
	v_cmp_eq_u32_e32 vcc, 0, v2
	s_and_saveexec_b64 s[28:29], vcc
	s_cbranch_execz .LBB5_26
; %bb.25:
	v_lshlrev_b32_e32 v4, 2, v13
	ds_write_b32 v4, v11
.LBB5_26:
	s_or_b64 exec, exec, s[28:29]
	v_add_co_u32_e32 v4, vcc, 63, v7
	v_addc_co_u32_e32 v5, vcc, 0, v12, vcc
	s_mov_b64 s[28:29], 0x7f
	v_cmp_gt_u64_e32 vcc, s[28:29], v[4:5]
	s_waitcnt lgkmcnt(0)
	s_barrier
	s_and_saveexec_b64 s[28:29], vcc
	s_cbranch_execz .LBB5_30
; %bb.27:
	v_lshlrev_b64 v[4:5], 6, v[2:3]
	v_cmp_gt_i64_e32 vcc, s[20:21], v[4:5]
	v_mov_b32_e32 v4, s33
	s_and_saveexec_b64 s[42:43], vcc
	s_cbranch_execz .LBB5_29
; %bb.28:
	v_lshlrev_b32_e32 v4, 2, v2
	ds_read_b32 v4, v4
.LBB5_29:
	s_or_b64 exec, exec, s[42:43]
	v_and_b32_e32 v5, 64, v6
	v_add_u32_e32 v5, 64, v5
	v_xor_b32_e32 v11, 1, v6
	v_cmp_lt_i32_e32 vcc, v11, v5
	v_cndmask_b32_e32 v11, v6, v11, vcc
	v_lshlrev_b32_e32 v11, 2, v11
	s_waitcnt lgkmcnt(0)
	ds_bpermute_b32 v11, v11, v4
	v_xor_b32_e32 v14, 2, v6
	v_cmp_lt_i32_e32 vcc, v14, v5
	s_waitcnt lgkmcnt(0)
	v_max_i32_e32 v4, v4, v11
	v_cndmask_b32_e32 v11, v6, v14, vcc
	v_lshlrev_b32_e32 v11, 2, v11
	ds_bpermute_b32 v11, v11, v4
	v_xor_b32_e32 v14, 4, v6
	v_cmp_lt_i32_e32 vcc, v14, v5
	s_waitcnt lgkmcnt(0)
	v_max_i32_e32 v4, v4, v11
	v_cndmask_b32_e32 v11, v6, v14, vcc
	v_lshlrev_b32_e32 v11, 2, v11
	ds_bpermute_b32 v11, v11, v4
	v_xor_b32_e32 v14, 8, v6
	v_cmp_lt_i32_e32 vcc, v14, v5
	v_cndmask_b32_e32 v5, v6, v14, vcc
	v_lshlrev_b32_e32 v5, 2, v5
	s_waitcnt lgkmcnt(0)
	v_max_i32_e32 v4, v4, v11
	ds_bpermute_b32 v5, v5, v4
	s_waitcnt lgkmcnt(0)
	v_max_i32_e32 v11, v4, v5
.LBB5_30:
	s_or_b64 exec, exec, s[28:29]
	s_barrier
.LBB5_31:
	s_mul_i32 s28, s0, s2
	s_mul_i32 s0, s1, s0
	s_add_i32 s28, s28, s6
	s_mul_i32 s1, s0, s8
	s_add_i32 s1, s28, s1
	s_waitcnt lgkmcnt(0)
	s_mul_i32 s29, s7, s0
	s_ashr_i32 s0, s1, 31
	s_lshr_b32 s0, s0, 27
	s_add_i32 s44, s1, s0
	s_and_b32 s0, s44, 0xffffffe0
	s_sub_i32 s28, s1, s0
	s_ashr_i32 s0, s29, 31
	s_lshr_b32 s0, s0, 27
	s_add_i32 s0, s29, s0
	s_ashr_i32 s7, s0, 5
	s_andn2_b32 s0, s0, 31
	s_sub_i32 s0, s29, s0
	s_cmp_lt_i32 s28, s0
	s_cselect_b64 s[0:1], -1, 0
	s_cmp_lg_u64 s[0:1], 0
	s_addc_u32 s7, s7, 0
	s_cmp_gt_u32 s7, 1
	v_cmp_eq_u32_e64 s[0:1], 0, v7
	s_cbranch_scc0 .LBB5_52
; %bb.32:
	s_add_i32 s29, s29, 31
	s_ashr_i32 s42, s29, 31
	s_lshr_b32 s42, s42, 27
	s_add_i32 s29, s29, s42
	s_ashr_i32 s29, s29, 5
	s_mul_i32 s29, s29, s28
	s_and_saveexec_b64 s[42:43], s[0:1]
	s_cbranch_execz .LBB5_34
; %bb.33:
	s_ashr_i32 s45, s44, 5
	s_add_i32 s46, s29, s45
	s_ashr_i32 s47, s46, 31
	s_lshl_b32 s44, s28, 4
	s_lshl_b64 s[46:47], s[46:47], 2
	s_add_u32 s46, s38, s46
	s_addc_u32 s47, s39, s47
	s_ashr_i32 s45, s44, 31
	s_lshl_b64 s[44:45], s[44:45], 2
	s_add_u32 s36, s36, s44
	v_pk_mov_b32 v[4:5], s[46:47], s[46:47] op_sel:[0,1]
	s_addc_u32 s37, s37, s45
	s_add_i32 s44, s7, -1
	flat_store_dword v[4:5], v11
	v_mov_b32_e32 v4, 0
	v_mov_b32_e32 v5, s44
	s_waitcnt vmcnt(0) lgkmcnt(0)
	global_atomic_inc v5, v4, v5, s[36:37] glc
	s_waitcnt vmcnt(0)
	v_cmp_eq_u32_e32 vcc, s44, v5
	v_cndmask_b32_e64 v5, 0, 1, vcc
	ds_write_b8 v4, v5 offset:192
.LBB5_34:
	s_or_b64 exec, exec, s[42:43]
	v_mov_b32_e32 v4, 0
	s_waitcnt lgkmcnt(0)
	s_barrier
	ds_read_u8 v4, v4 offset:192
	s_mov_b64 s[36:37], 0
	s_waitcnt lgkmcnt(0)
	v_cmp_eq_u32_e32 vcc, 0, v4
	v_mov_b32_e32 v4, v10
	s_cbranch_vccnz .LBB5_51
; %bb.35:
	v_cmp_gt_u32_e32 vcc, s7, v7
	v_mov_b32_e32 v14, s33
	s_and_saveexec_b64 s[36:37], vcc
	s_cbranch_execz .LBB5_39
; %bb.36:
	s_mov_b64 s[42:43], 0
	v_mov_b32_e32 v14, s33
	v_mov_b32_e32 v5, 0
	;; [unrolled: 1-line block ×4, first 2 shown]
.LBB5_37:                               ; =>This Inner Loop Header: Depth=1
	v_add_u32_e32 v4, s29, v16
	v_lshlrev_b64 v[18:19], 2, v[4:5]
	v_add_co_u32_e32 v18, vcc, s38, v18
	v_addc_co_u32_e32 v19, vcc, v15, v19, vcc
	flat_load_dword v4, v[18:19] glc
	v_add_u32_e32 v16, s20, v16
	v_cmp_le_u32_e32 vcc, s7, v16
	s_or_b64 s[42:43], vcc, s[42:43]
	s_waitcnt vmcnt(0) lgkmcnt(0)
	v_max_i32_e32 v14, v14, v4
	s_andn2_b64 exec, exec, s[42:43]
	s_cbranch_execnz .LBB5_37
; %bb.38:
	s_or_b64 exec, exec, s[42:43]
.LBB5_39:
	s_or_b64 exec, exec, s[36:37]
	s_andn2_b64 vcc, exec, s[34:35]
	s_cbranch_vccnz .LBB5_133
; %bb.40:
	v_and_b32_e32 v4, 64, v6
	v_xor_b32_e32 v5, 1, v7
	v_and_or_b32 v15, v5, 63, v4
	v_lshlrev_b32_e32 v15, 2, v15
	ds_bpermute_b32 v15, v15, v14
	v_xor_b32_e32 v16, 2, v7
	v_and_or_b32 v17, v16, 63, v4
	v_cmp_gt_i32_e32 vcc, s20, v5
	s_waitcnt lgkmcnt(0)
	v_max_i32_e32 v15, v14, v15
	v_cndmask_b32_e32 v5, v14, v15, vcc
	v_lshlrev_b32_e32 v15, 2, v17
	ds_bpermute_b32 v15, v15, v5
	v_xor_b32_e32 v17, 4, v7
	v_and_or_b32 v18, v17, 63, v4
	v_cmp_gt_i32_e32 vcc, s20, v16
	v_xor_b32_e32 v16, 8, v7
	s_waitcnt lgkmcnt(0)
	v_max_i32_e32 v15, v5, v15
	v_cndmask_b32_e32 v5, v5, v15, vcc
	v_lshlrev_b32_e32 v15, 2, v18
	ds_bpermute_b32 v15, v15, v5
	v_and_or_b32 v18, v16, 63, v4
	v_cmp_gt_i32_e32 vcc, s20, v17
	v_xor_b32_e32 v17, 16, v7
	s_waitcnt lgkmcnt(0)
	v_max_i32_e32 v15, v5, v15
	v_cndmask_b32_e32 v5, v5, v15, vcc
	v_lshlrev_b32_e32 v15, 2, v18
	ds_bpermute_b32 v15, v15, v5
	v_and_or_b32 v18, v17, 63, v4
	v_cmp_gt_i32_e32 vcc, s20, v16
	v_xor_b32_e32 v16, 32, v7
	v_and_or_b32 v4, v16, 63, v4
	s_waitcnt lgkmcnt(0)
	v_max_i32_e32 v15, v5, v15
	v_cndmask_b32_e32 v5, v5, v15, vcc
	v_lshlrev_b32_e32 v15, 2, v18
	ds_bpermute_b32 v15, v15, v5
	v_cmp_gt_i32_e32 vcc, s20, v17
	v_lshlrev_b32_e32 v4, 2, v4
	s_waitcnt lgkmcnt(0)
	v_max_i32_e32 v15, v5, v15
	v_cndmask_b32_e32 v5, v5, v15, vcc
	ds_bpermute_b32 v4, v4, v5
	v_cmp_gt_i32_e32 vcc, s20, v16
	s_waitcnt lgkmcnt(0)
	v_max_i32_e32 v4, v5, v4
	v_cndmask_b32_e32 v4, v5, v4, vcc
	s_cbranch_execnz .LBB5_42
.LBB5_41:
	v_and_b32_e32 v4, 64, v6
	v_add_u32_e32 v4, 64, v4
	v_xor_b32_e32 v5, 1, v6
	v_cmp_lt_i32_e32 vcc, v5, v4
	v_cndmask_b32_e32 v5, v6, v5, vcc
	v_lshlrev_b32_e32 v5, 2, v5
	ds_bpermute_b32 v5, v5, v14
	v_xor_b32_e32 v15, 2, v6
	v_cmp_lt_i32_e32 vcc, v15, v4
	s_waitcnt lgkmcnt(0)
	v_max_i32_e32 v5, v14, v5
	v_cndmask_b32_e32 v14, v6, v15, vcc
	v_lshlrev_b32_e32 v14, 2, v14
	ds_bpermute_b32 v14, v14, v5
	v_xor_b32_e32 v15, 4, v6
	v_cmp_lt_i32_e32 vcc, v15, v4
	s_waitcnt lgkmcnt(0)
	v_max_i32_e32 v5, v5, v14
	v_cndmask_b32_e32 v14, v6, v15, vcc
	v_lshlrev_b32_e32 v14, 2, v14
	ds_bpermute_b32 v14, v14, v5
	v_xor_b32_e32 v15, 8, v6
	v_cmp_lt_i32_e32 vcc, v15, v4
	s_waitcnt lgkmcnt(0)
	v_max_i32_e32 v5, v5, v14
	v_cndmask_b32_e32 v14, v6, v15, vcc
	v_lshlrev_b32_e32 v14, 2, v14
	ds_bpermute_b32 v14, v14, v5
	v_xor_b32_e32 v15, 16, v6
	v_cmp_lt_i32_e32 vcc, v15, v4
	s_waitcnt lgkmcnt(0)
	v_max_i32_e32 v5, v5, v14
	v_cndmask_b32_e32 v14, v6, v15, vcc
	v_lshlrev_b32_e32 v14, 2, v14
	ds_bpermute_b32 v14, v14, v5
	v_xor_b32_e32 v15, 32, v6
	v_cmp_lt_i32_e32 vcc, v15, v4
	v_cndmask_b32_e32 v4, v6, v15, vcc
	v_lshlrev_b32_e32 v4, 2, v4
	s_waitcnt lgkmcnt(0)
	v_max_i32_e32 v5, v5, v14
	ds_bpermute_b32 v4, v4, v5
	s_waitcnt lgkmcnt(0)
	v_max_i32_e32 v4, v5, v4
.LBB5_42:
	s_andn2_b64 vcc, exec, s[40:41]
	s_cbranch_vccnz .LBB5_50
; %bb.43:
	v_cmp_eq_u32_e32 vcc, 0, v2
	s_and_saveexec_b64 s[34:35], vcc
	s_cbranch_execz .LBB5_45
; %bb.44:
	v_lshlrev_b32_e32 v5, 2, v13
	ds_write_b32 v5, v4
.LBB5_45:
	s_or_b64 exec, exec, s[34:35]
	v_add_co_u32_e32 v14, vcc, 63, v7
	v_addc_co_u32_e32 v15, vcc, 0, v12, vcc
	s_mov_b64 s[34:35], 0x7f
	v_cmp_gt_u64_e32 vcc, s[34:35], v[14:15]
	s_waitcnt lgkmcnt(0)
	s_barrier
	s_and_saveexec_b64 s[34:35], vcc
	s_cbranch_execz .LBB5_49
; %bb.46:
	v_lshlrev_b64 v[4:5], 6, v[2:3]
	v_cmp_gt_i64_e32 vcc, s[20:21], v[4:5]
	v_mov_b32_e32 v3, s33
	s_and_saveexec_b64 s[20:21], vcc
	s_cbranch_execz .LBB5_48
; %bb.47:
	v_lshlrev_b32_e32 v2, 2, v2
	ds_read_b32 v3, v2
.LBB5_48:
	s_or_b64 exec, exec, s[20:21]
	v_and_b32_e32 v2, 64, v6
	v_add_u32_e32 v2, 64, v2
	v_xor_b32_e32 v4, 1, v6
	v_cmp_lt_i32_e32 vcc, v4, v2
	v_cndmask_b32_e32 v4, v6, v4, vcc
	v_lshlrev_b32_e32 v4, 2, v4
	s_waitcnt lgkmcnt(0)
	ds_bpermute_b32 v4, v4, v3
	v_xor_b32_e32 v5, 2, v6
	v_cmp_lt_i32_e32 vcc, v5, v2
	s_waitcnt lgkmcnt(0)
	v_max_i32_e32 v3, v3, v4
	v_cndmask_b32_e32 v4, v6, v5, vcc
	v_lshlrev_b32_e32 v4, 2, v4
	ds_bpermute_b32 v4, v4, v3
	v_xor_b32_e32 v5, 4, v6
	v_cmp_lt_i32_e32 vcc, v5, v2
	s_waitcnt lgkmcnt(0)
	v_max_i32_e32 v3, v3, v4
	v_cndmask_b32_e32 v4, v6, v5, vcc
	v_lshlrev_b32_e32 v4, 2, v4
	ds_bpermute_b32 v4, v4, v3
	v_xor_b32_e32 v5, 8, v6
	v_cmp_lt_i32_e32 vcc, v5, v2
	v_cndmask_b32_e32 v2, v6, v5, vcc
	v_lshlrev_b32_e32 v2, 2, v2
	s_waitcnt lgkmcnt(0)
	v_max_i32_e32 v3, v3, v4
	ds_bpermute_b32 v2, v2, v3
	s_waitcnt lgkmcnt(0)
	v_max_i32_e32 v4, v3, v2
.LBB5_49:
	s_or_b64 exec, exec, s[34:35]
	s_barrier
.LBB5_50:
	v_mov_b32_e32 v2, 0
	ds_read_u8 v2, v2 offset:192
	v_cndmask_b32_e64 v4, v10, v4, s[0:1]
	s_waitcnt lgkmcnt(0)
	v_and_b32_e32 v2, 1, v2
	v_cmp_eq_u32_e64 s[36:37], 1, v2
.LBB5_51:
	s_and_b64 s[20:21], s[0:1], s[36:37]
	s_branch .LBB5_54
.LBB5_52:
                                        ; implicit-def: $sgpr20_sgpr21
                                        ; implicit-def: $vgpr4
	s_cbranch_execz .LBB5_54
; %bb.53:
	v_cndmask_b32_e64 v4, v10, v11, s[0:1]
	s_andn2_b64 s[20:21], s[20:21], exec
	s_and_b64 s[0:1], s[0:1], exec
	s_or_b64 s[20:21], s[20:21], s[0:1]
.LBB5_54:
	s_and_saveexec_b64 s[0:1], s[20:21]
	s_cbranch_execz .LBB5_56
; %bb.55:
	s_ashr_i32 s29, s28, 31
	s_lshl_b64 s[20:21], s[28:29], 2
	s_add_u32 s20, s30, s20
	s_addc_u32 s21, s31, s21
	v_pk_mov_b32 v[2:3], s[20:21], s[20:21] op_sel:[0,1]
	flat_store_dword v[2:3], v4
.LBB5_56:
	s_or_b64 exec, exec, s[0:1]
	s_cmp_lg_u64 s[22:23], 0
	s_cbranch_scc1 .LBB5_18
.LBB5_57:
	s_load_dwordx2 s[0:1], s[4:5], 0xb0
	s_add_u32 s7, s4, 0xb0
	v_mov_b32_e32 v2, 0
	global_load_dword v3, v2, s[4:5] offset:190
	s_addc_u32 s21, s5, 0
	s_waitcnt lgkmcnt(0)
	s_cmp_lt_u32 s6, s0
	s_cselect_b32 s20, 12, 18
	s_add_u32 s20, s7, s20
	s_addc_u32 s21, s21, 0
	global_load_ushort v2, v2, s[20:21]
	v_bfe_u32 v4, v0, 10, 10
	v_bfe_u32 v5, v0, 20, 10
	s_mov_b32 s31, 0
	s_mov_b64 s[22:23], 0
	s_waitcnt vmcnt(0)
	v_readfirstlane_b32 s7, v3
	s_lshr_b32 s20, s7, 16
	s_and_b32 s7, s7, 0xffff
	v_readfirstlane_b32 s21, v2
	s_mul_i32 s7, s7, s21
	s_mul_i32 s20, s7, s20
	v_mul_u32_u24_e32 v3, v4, v2
	v_mul_lo_u32 v2, s7, v5
	s_ashr_i32 s21, s20, 31
	s_and_b32 s30, s20, 63
	v_add3_u32 v7, v3, v1, v2
	s_cmp_lg_u64 s[30:31], 0
	v_mbcnt_lo_u32_b32 v2, -1, 0
	s_cselect_b64 s[28:29], -1, 0
	s_cmp_eq_u64 s[30:31], 0
	v_mbcnt_hi_u32_b32 v6, -1, v2
	s_cbranch_scc1 .LBB5_131
; %bb.58:
	v_and_b32_e32 v2, 64, v6
	v_xor_b32_e32 v3, 1, v7
	v_and_or_b32 v4, v3, 63, v2
	v_lshlrev_b32_e32 v4, 2, v4
	ds_bpermute_b32 v4, v4, v9
	v_xor_b32_e32 v5, 2, v7
	v_and_or_b32 v10, v5, 63, v2
	v_cmp_gt_i32_e32 vcc, s20, v3
	s_waitcnt lgkmcnt(0)
	v_min_i32_e32 v4, v4, v9
	v_cndmask_b32_e32 v3, v9, v4, vcc
	v_lshlrev_b32_e32 v4, 2, v10
	ds_bpermute_b32 v4, v4, v3
	v_xor_b32_e32 v10, 4, v7
	v_and_or_b32 v11, v10, 63, v2
	v_cmp_gt_i32_e32 vcc, s20, v5
	v_xor_b32_e32 v5, 8, v7
	s_waitcnt lgkmcnt(0)
	v_min_i32_e32 v4, v4, v3
	v_cndmask_b32_e32 v3, v3, v4, vcc
	v_lshlrev_b32_e32 v4, 2, v11
	ds_bpermute_b32 v4, v4, v3
	v_and_or_b32 v11, v5, 63, v2
	v_cmp_gt_i32_e32 vcc, s20, v10
	v_xor_b32_e32 v10, 16, v7
	s_waitcnt lgkmcnt(0)
	v_min_i32_e32 v4, v4, v3
	v_cndmask_b32_e32 v3, v3, v4, vcc
	v_lshlrev_b32_e32 v4, 2, v11
	ds_bpermute_b32 v4, v4, v3
	v_and_or_b32 v11, v10, 63, v2
	v_cmp_gt_i32_e32 vcc, s20, v5
	v_xor_b32_e32 v5, 32, v7
	v_and_or_b32 v2, v5, 63, v2
	s_waitcnt lgkmcnt(0)
	v_min_i32_e32 v4, v4, v3
	v_cndmask_b32_e32 v3, v3, v4, vcc
	v_lshlrev_b32_e32 v4, 2, v11
	ds_bpermute_b32 v4, v4, v3
	v_cmp_gt_i32_e32 vcc, s20, v10
	v_lshlrev_b32_e32 v2, 2, v2
	s_waitcnt lgkmcnt(0)
	v_min_i32_e32 v4, v4, v3
	v_cndmask_b32_e32 v3, v3, v4, vcc
	ds_bpermute_b32 v2, v2, v3
	v_cmp_gt_i32_e32 vcc, s20, v5
	s_waitcnt lgkmcnt(0)
	v_min_i32_e32 v2, v2, v3
	v_cndmask_b32_e32 v10, v3, v2, vcc
	s_andn2_b64 vcc, exec, s[22:23]
	s_cbranch_vccnz .LBB5_60
.LBB5_59:
	v_and_b32_e32 v2, 64, v6
	v_add_u32_e32 v2, 64, v2
	v_xor_b32_e32 v3, 1, v6
	v_cmp_lt_i32_e32 vcc, v3, v2
	v_cndmask_b32_e32 v3, v6, v3, vcc
	v_lshlrev_b32_e32 v3, 2, v3
	ds_bpermute_b32 v3, v3, v9
	v_xor_b32_e32 v4, 2, v6
	v_cmp_lt_i32_e32 vcc, v4, v2
	v_cndmask_b32_e32 v4, v6, v4, vcc
	v_lshlrev_b32_e32 v4, 2, v4
	s_waitcnt lgkmcnt(0)
	v_min_i32_e32 v3, v3, v9
	ds_bpermute_b32 v4, v4, v3
	v_xor_b32_e32 v5, 4, v6
	v_cmp_lt_i32_e32 vcc, v5, v2
	s_waitcnt lgkmcnt(0)
	v_min_i32_e32 v3, v4, v3
	v_cndmask_b32_e32 v4, v6, v5, vcc
	v_lshlrev_b32_e32 v4, 2, v4
	ds_bpermute_b32 v4, v4, v3
	v_xor_b32_e32 v5, 8, v6
	v_cmp_lt_i32_e32 vcc, v5, v2
	s_waitcnt lgkmcnt(0)
	v_min_i32_e32 v3, v4, v3
	v_cndmask_b32_e32 v4, v6, v5, vcc
	v_lshlrev_b32_e32 v4, 2, v4
	;; [unrolled: 7-line block ×3, first 2 shown]
	ds_bpermute_b32 v4, v4, v3
	v_xor_b32_e32 v5, 32, v6
	v_cmp_lt_i32_e32 vcc, v5, v2
	v_cndmask_b32_e32 v2, v6, v5, vcc
	v_lshlrev_b32_e32 v2, 2, v2
	s_waitcnt lgkmcnt(0)
	v_min_i32_e32 v3, v4, v3
	ds_bpermute_b32 v2, v2, v3
	s_waitcnt lgkmcnt(0)
	v_min_i32_e32 v10, v2, v3
.LBB5_60:
	v_ashrrev_i32_e32 v11, 31, v7
	s_load_dword s7, s[4:5], 0xb8
	v_lshrrev_b32_e32 v2, 26, v11
	v_add_u32_e32 v2, v7, v2
	v_ashrrev_i32_e32 v12, 6, v2
	v_and_b32_e32 v2, 0xffffffc0, v2
	v_sub_u32_e32 v2, v7, v2
	s_cmp_gt_i32 s20, 64
	s_cselect_b64 s[30:31], -1, 0
	s_cmpk_lt_i32 s20, 0x41
	v_ashrrev_i32_e32 v3, 31, v2
	s_cbranch_scc1 .LBB5_68
; %bb.61:
	v_cmp_eq_u32_e32 vcc, 0, v2
	s_and_saveexec_b64 s[22:23], vcc
	s_cbranch_execz .LBB5_63
; %bb.62:
	v_lshlrev_b32_e32 v4, 2, v12
	ds_write_b32 v4, v10 offset:64
.LBB5_63:
	s_or_b64 exec, exec, s[22:23]
	v_add_co_u32_e32 v4, vcc, 63, v7
	v_addc_co_u32_e32 v5, vcc, 0, v11, vcc
	s_mov_b64 s[22:23], 0x7f
	v_cmp_gt_u64_e32 vcc, s[22:23], v[4:5]
	s_waitcnt lgkmcnt(0)
	s_barrier
	s_and_saveexec_b64 s[22:23], vcc
	s_cbranch_execz .LBB5_67
; %bb.64:
	v_lshlrev_b64 v[4:5], 6, v[2:3]
	v_cmp_gt_i64_e32 vcc, s[20:21], v[4:5]
	v_mov_b32_e32 v4, s9
	s_and_saveexec_b64 s[34:35], vcc
	s_cbranch_execz .LBB5_66
; %bb.65:
	v_lshlrev_b32_e32 v4, 2, v2
	ds_read_b32 v4, v4 offset:64
.LBB5_66:
	s_or_b64 exec, exec, s[34:35]
	v_and_b32_e32 v5, 64, v6
	v_add_u32_e32 v5, 64, v5
	v_xor_b32_e32 v10, 1, v6
	v_cmp_lt_i32_e32 vcc, v10, v5
	v_cndmask_b32_e32 v10, v6, v10, vcc
	v_lshlrev_b32_e32 v10, 2, v10
	s_waitcnt lgkmcnt(0)
	ds_bpermute_b32 v10, v10, v4
	v_xor_b32_e32 v13, 2, v6
	v_cmp_lt_i32_e32 vcc, v13, v5
	s_waitcnt lgkmcnt(0)
	v_min_i32_e32 v4, v10, v4
	v_cndmask_b32_e32 v10, v6, v13, vcc
	v_lshlrev_b32_e32 v10, 2, v10
	ds_bpermute_b32 v10, v10, v4
	v_xor_b32_e32 v13, 4, v6
	v_cmp_lt_i32_e32 vcc, v13, v5
	s_waitcnt lgkmcnt(0)
	v_min_i32_e32 v4, v10, v4
	v_cndmask_b32_e32 v10, v6, v13, vcc
	v_lshlrev_b32_e32 v10, 2, v10
	ds_bpermute_b32 v10, v10, v4
	v_xor_b32_e32 v13, 8, v6
	v_cmp_lt_i32_e32 vcc, v13, v5
	v_cndmask_b32_e32 v5, v6, v13, vcc
	v_lshlrev_b32_e32 v5, 2, v5
	s_waitcnt lgkmcnt(0)
	v_min_i32_e32 v4, v10, v4
	ds_bpermute_b32 v5, v5, v4
	s_waitcnt lgkmcnt(0)
	v_min_i32_e32 v10, v5, v4
.LBB5_67:
	s_or_b64 exec, exec, s[22:23]
	s_barrier
.LBB5_68:
	s_mul_i32 s22, s0, s2
	s_mul_i32 s0, s1, s0
	s_add_i32 s22, s22, s6
	s_mul_i32 s1, s0, s8
	s_add_i32 s1, s22, s1
	s_waitcnt lgkmcnt(0)
	s_mul_i32 s23, s7, s0
	s_ashr_i32 s0, s1, 31
	s_lshr_b32 s0, s0, 27
	s_add_i32 s33, s1, s0
	s_and_b32 s0, s33, 0xffffffe0
	s_sub_i32 s22, s1, s0
	s_ashr_i32 s0, s23, 31
	s_lshr_b32 s0, s0, 27
	s_add_i32 s0, s23, s0
	s_ashr_i32 s7, s0, 5
	s_andn2_b32 s0, s0, 31
	s_sub_i32 s0, s23, s0
	s_cmp_lt_i32 s22, s0
	s_cselect_b64 s[0:1], -1, 0
	s_cmp_lg_u64 s[0:1], 0
	s_addc_u32 s7, s7, 0
	s_cmp_gt_u32 s7, 1
	v_cmp_eq_u32_e64 s[0:1], 0, v7
	s_cbranch_scc0 .LBB5_89
; %bb.69:
	s_add_i32 s23, s23, 31
	s_ashr_i32 s34, s23, 31
	s_lshr_b32 s34, s34, 27
	s_add_i32 s23, s23, s34
	s_ashr_i32 s23, s23, 5
	s_mul_i32 s23, s23, s22
	s_and_saveexec_b64 s[34:35], s[0:1]
	s_cbranch_execz .LBB5_71
; %bb.70:
	s_ashr_i32 s33, s33, 5
	s_add_i32 s38, s23, s33
	s_ashr_i32 s39, s38, 31
	s_lshl_b32 s36, s22, 4
	s_lshl_b64 s[38:39], s[38:39], 2
	s_add_u32 s38, s26, s38
	s_addc_u32 s39, s27, s39
	s_ashr_i32 s37, s36, 31
	s_lshl_b64 s[36:37], s[36:37], 2
	s_add_u32 s24, s24, s36
	v_pk_mov_b32 v[4:5], s[38:39], s[38:39] op_sel:[0,1]
	s_addc_u32 s25, s25, s37
	s_add_i32 s33, s7, -1
	flat_store_dword v[4:5], v10
	v_mov_b32_e32 v4, 0
	v_mov_b32_e32 v5, s33
	s_waitcnt vmcnt(0) lgkmcnt(0)
	global_atomic_inc v5, v4, v5, s[24:25] glc
	s_waitcnt vmcnt(0)
	v_cmp_eq_u32_e32 vcc, s33, v5
	v_cndmask_b32_e64 v5, 0, 1, vcc
	ds_write_b8 v4, v5 offset:193
.LBB5_71:
	s_or_b64 exec, exec, s[34:35]
	v_mov_b32_e32 v4, 0
	s_waitcnt lgkmcnt(0)
	s_barrier
	ds_read_u8 v4, v4 offset:193
	s_mov_b64 s[24:25], 0
	s_waitcnt lgkmcnt(0)
	v_cmp_eq_u32_e32 vcc, 0, v4
	v_mov_b32_e32 v4, v9
	s_cbranch_vccnz .LBB5_88
; %bb.72:
	v_cmp_gt_u32_e32 vcc, s7, v7
	v_mov_b32_e32 v13, s9
	s_and_saveexec_b64 s[24:25], vcc
	s_cbranch_execz .LBB5_76
; %bb.73:
	s_mov_b64 s[34:35], 0
	v_mov_b32_e32 v13, s9
	v_mov_b32_e32 v5, 0
	;; [unrolled: 1-line block ×4, first 2 shown]
.LBB5_74:                               ; =>This Inner Loop Header: Depth=1
	v_add_u32_e32 v4, s23, v15
	v_lshlrev_b64 v[16:17], 2, v[4:5]
	v_add_co_u32_e32 v16, vcc, s26, v16
	v_addc_co_u32_e32 v17, vcc, v14, v17, vcc
	flat_load_dword v4, v[16:17] glc
	v_add_u32_e32 v15, s20, v15
	v_cmp_le_u32_e32 vcc, s7, v15
	s_or_b64 s[34:35], vcc, s[34:35]
	s_waitcnt vmcnt(0) lgkmcnt(0)
	v_min_i32_e32 v13, v4, v13
	s_andn2_b64 exec, exec, s[34:35]
	s_cbranch_execnz .LBB5_74
; %bb.75:
	s_or_b64 exec, exec, s[34:35]
.LBB5_76:
	s_or_b64 exec, exec, s[24:25]
	s_andn2_b64 vcc, exec, s[28:29]
	s_cbranch_vccnz .LBB5_134
; %bb.77:
	v_and_b32_e32 v4, 64, v6
	v_xor_b32_e32 v5, 1, v7
	v_and_or_b32 v14, v5, 63, v4
	v_lshlrev_b32_e32 v14, 2, v14
	ds_bpermute_b32 v14, v14, v13
	v_xor_b32_e32 v15, 2, v7
	v_and_or_b32 v16, v15, 63, v4
	v_cmp_gt_i32_e32 vcc, s20, v5
	s_waitcnt lgkmcnt(0)
	v_min_i32_e32 v14, v14, v13
	v_cndmask_b32_e32 v5, v13, v14, vcc
	v_lshlrev_b32_e32 v14, 2, v16
	ds_bpermute_b32 v14, v14, v5
	v_xor_b32_e32 v16, 4, v7
	v_and_or_b32 v17, v16, 63, v4
	v_cmp_gt_i32_e32 vcc, s20, v15
	v_xor_b32_e32 v15, 8, v7
	s_waitcnt lgkmcnt(0)
	v_min_i32_e32 v14, v14, v5
	v_cndmask_b32_e32 v5, v5, v14, vcc
	v_lshlrev_b32_e32 v14, 2, v17
	ds_bpermute_b32 v14, v14, v5
	v_and_or_b32 v17, v15, 63, v4
	v_cmp_gt_i32_e32 vcc, s20, v16
	v_xor_b32_e32 v16, 16, v7
	s_waitcnt lgkmcnt(0)
	v_min_i32_e32 v14, v14, v5
	v_cndmask_b32_e32 v5, v5, v14, vcc
	v_lshlrev_b32_e32 v14, 2, v17
	ds_bpermute_b32 v14, v14, v5
	v_and_or_b32 v17, v16, 63, v4
	v_cmp_gt_i32_e32 vcc, s20, v15
	v_xor_b32_e32 v15, 32, v7
	v_and_or_b32 v4, v15, 63, v4
	s_waitcnt lgkmcnt(0)
	v_min_i32_e32 v14, v14, v5
	v_cndmask_b32_e32 v5, v5, v14, vcc
	v_lshlrev_b32_e32 v14, 2, v17
	ds_bpermute_b32 v14, v14, v5
	v_cmp_gt_i32_e32 vcc, s20, v16
	v_lshlrev_b32_e32 v4, 2, v4
	s_waitcnt lgkmcnt(0)
	v_min_i32_e32 v14, v14, v5
	v_cndmask_b32_e32 v5, v5, v14, vcc
	ds_bpermute_b32 v4, v4, v5
	v_cmp_gt_i32_e32 vcc, s20, v15
	s_waitcnt lgkmcnt(0)
	v_min_i32_e32 v4, v4, v5
	v_cndmask_b32_e32 v4, v5, v4, vcc
	s_cbranch_execnz .LBB5_79
.LBB5_78:
	v_and_b32_e32 v4, 64, v6
	v_add_u32_e32 v4, 64, v4
	v_xor_b32_e32 v5, 1, v6
	v_cmp_lt_i32_e32 vcc, v5, v4
	v_cndmask_b32_e32 v5, v6, v5, vcc
	v_lshlrev_b32_e32 v5, 2, v5
	ds_bpermute_b32 v5, v5, v13
	v_xor_b32_e32 v14, 2, v6
	v_cmp_lt_i32_e32 vcc, v14, v4
	s_waitcnt lgkmcnt(0)
	v_min_i32_e32 v5, v5, v13
	v_cndmask_b32_e32 v13, v6, v14, vcc
	v_lshlrev_b32_e32 v13, 2, v13
	ds_bpermute_b32 v13, v13, v5
	v_xor_b32_e32 v14, 4, v6
	v_cmp_lt_i32_e32 vcc, v14, v4
	s_waitcnt lgkmcnt(0)
	v_min_i32_e32 v5, v13, v5
	;; [unrolled: 7-line block ×4, first 2 shown]
	v_cndmask_b32_e32 v13, v6, v14, vcc
	v_lshlrev_b32_e32 v13, 2, v13
	ds_bpermute_b32 v13, v13, v5
	v_xor_b32_e32 v14, 32, v6
	v_cmp_lt_i32_e32 vcc, v14, v4
	v_cndmask_b32_e32 v4, v6, v14, vcc
	v_lshlrev_b32_e32 v4, 2, v4
	s_waitcnt lgkmcnt(0)
	v_min_i32_e32 v5, v13, v5
	ds_bpermute_b32 v4, v4, v5
	s_waitcnt lgkmcnt(0)
	v_min_i32_e32 v4, v4, v5
.LBB5_79:
	s_andn2_b64 vcc, exec, s[30:31]
	s_cbranch_vccnz .LBB5_87
; %bb.80:
	v_cmp_eq_u32_e32 vcc, 0, v2
	s_and_saveexec_b64 s[24:25], vcc
	s_cbranch_execz .LBB5_82
; %bb.81:
	v_lshlrev_b32_e32 v5, 2, v12
	ds_write_b32 v5, v4 offset:64
.LBB5_82:
	s_or_b64 exec, exec, s[24:25]
	v_add_co_u32_e32 v12, vcc, 63, v7
	v_addc_co_u32_e32 v13, vcc, 0, v11, vcc
	s_mov_b64 s[24:25], 0x7f
	v_cmp_gt_u64_e32 vcc, s[24:25], v[12:13]
	s_waitcnt lgkmcnt(0)
	s_barrier
	s_and_saveexec_b64 s[24:25], vcc
	s_cbranch_execz .LBB5_86
; %bb.83:
	v_lshlrev_b64 v[4:5], 6, v[2:3]
	v_cmp_gt_i64_e32 vcc, s[20:21], v[4:5]
	v_mov_b32_e32 v3, s9
	s_and_saveexec_b64 s[20:21], vcc
	s_cbranch_execz .LBB5_85
; %bb.84:
	v_lshlrev_b32_e32 v2, 2, v2
	ds_read_b32 v3, v2 offset:64
.LBB5_85:
	s_or_b64 exec, exec, s[20:21]
	v_and_b32_e32 v2, 64, v6
	v_add_u32_e32 v2, 64, v2
	v_xor_b32_e32 v4, 1, v6
	v_cmp_lt_i32_e32 vcc, v4, v2
	v_cndmask_b32_e32 v4, v6, v4, vcc
	v_lshlrev_b32_e32 v4, 2, v4
	s_waitcnt lgkmcnt(0)
	ds_bpermute_b32 v4, v4, v3
	v_xor_b32_e32 v5, 2, v6
	v_cmp_lt_i32_e32 vcc, v5, v2
	s_waitcnt lgkmcnt(0)
	v_min_i32_e32 v3, v4, v3
	v_cndmask_b32_e32 v4, v6, v5, vcc
	v_lshlrev_b32_e32 v4, 2, v4
	ds_bpermute_b32 v4, v4, v3
	v_xor_b32_e32 v5, 4, v6
	v_cmp_lt_i32_e32 vcc, v5, v2
	s_waitcnt lgkmcnt(0)
	v_min_i32_e32 v3, v4, v3
	v_cndmask_b32_e32 v4, v6, v5, vcc
	v_lshlrev_b32_e32 v4, 2, v4
	ds_bpermute_b32 v4, v4, v3
	v_xor_b32_e32 v5, 8, v6
	v_cmp_lt_i32_e32 vcc, v5, v2
	v_cndmask_b32_e32 v2, v6, v5, vcc
	v_lshlrev_b32_e32 v2, 2, v2
	s_waitcnt lgkmcnt(0)
	v_min_i32_e32 v3, v4, v3
	ds_bpermute_b32 v2, v2, v3
	s_waitcnt lgkmcnt(0)
	v_min_i32_e32 v4, v2, v3
.LBB5_86:
	s_or_b64 exec, exec, s[24:25]
	s_barrier
.LBB5_87:
	v_mov_b32_e32 v2, 0
	ds_read_u8 v2, v2 offset:193
	v_cndmask_b32_e64 v4, v9, v4, s[0:1]
	s_waitcnt lgkmcnt(0)
	v_and_b32_e32 v2, 1, v2
	v_cmp_eq_u32_e64 s[24:25], 1, v2
.LBB5_88:
	s_and_b64 s[20:21], s[0:1], s[24:25]
	s_branch .LBB5_91
.LBB5_89:
                                        ; implicit-def: $sgpr20_sgpr21
                                        ; implicit-def: $vgpr4
	s_cbranch_execz .LBB5_91
; %bb.90:
	v_cndmask_b32_e64 v4, v9, v10, s[0:1]
	s_andn2_b64 s[20:21], s[20:21], exec
	s_and_b64 s[0:1], s[0:1], exec
	s_or_b64 s[20:21], s[20:21], s[0:1]
.LBB5_91:
	s_and_saveexec_b64 s[0:1], s[20:21]
	s_cbranch_execz .LBB5_93
; %bb.92:
	s_ashr_i32 s23, s22, 31
	s_lshl_b64 s[20:21], s[22:23], 2
	s_add_u32 s10, s10, s20
	s_addc_u32 s11, s11, s21
	v_pk_mov_b32 v[2:3], s[10:11], s[10:11] op_sel:[0,1]
	flat_store_dword v[2:3], v4
.LBB5_93:
	s_or_b64 exec, exec, s[0:1]
	s_cmp_lg_u64 s[12:13], 0
	s_cbranch_scc1 .LBB5_19
.LBB5_94:
	s_load_dwordx2 s[0:1], s[4:5], 0xb0
	s_add_u32 s7, s4, 0xb0
	v_mov_b32_e32 v2, 0
	global_load_dword v3, v2, s[4:5] offset:190
	s_addc_u32 s9, s5, 0
	s_waitcnt lgkmcnt(0)
	s_cmp_lt_u32 s6, s0
	s_cselect_b32 s10, 12, 18
	s_add_u32 s10, s7, s10
	s_addc_u32 s11, s9, 0
	global_load_ushort v2, v2, s[10:11]
	v_bfe_u32 v4, v0, 10, 10
	v_bfe_u32 v0, v0, 20, 10
	s_mov_b32 s21, 0
	s_waitcnt vmcnt(0)
	v_readfirstlane_b32 s7, v3
	s_lshr_b32 s9, s7, 16
	s_and_b32 s7, s7, 0xffff
	v_readfirstlane_b32 s10, v2
	s_mul_i32 s7, s7, s10
	s_mul_i32 s10, s7, s9
	v_mul_u32_u24_e32 v3, v4, v2
	v_mul_lo_u32 v0, s7, v0
	s_ashr_i32 s11, s10, 31
	s_and_b32 s20, s10, 63
	v_add3_u32 v5, v3, v1, v0
	s_cmp_lg_u64 s[20:21], 0
	v_mbcnt_lo_u32_b32 v0, -1, 0
	s_cselect_b64 s[12:13], -1, 0
	s_cmp_eq_u64 s[20:21], 0
	v_mbcnt_hi_u32_b32 v4, -1, v0
	s_cbranch_scc1 .LBB5_132
; %bb.95:
	v_and_b32_e32 v0, 64, v4
	v_xor_b32_e32 v1, 1, v5
	v_and_or_b32 v2, v1, 63, v0
	v_lshlrev_b32_e32 v2, 2, v2
	ds_bpermute_b32 v2, v2, v8
	v_xor_b32_e32 v3, 2, v5
	v_cmp_gt_i32_e32 vcc, s10, v1
	v_and_or_b32 v6, v3, 63, v0
	s_waitcnt lgkmcnt(0)
	v_cndmask_b32_e32 v1, 0, v2, vcc
	v_add_u32_e32 v1, v1, v8
	v_lshlrev_b32_e32 v2, 2, v6
	ds_bpermute_b32 v2, v2, v1
	v_xor_b32_e32 v6, 4, v5
	v_cmp_gt_i32_e32 vcc, s10, v3
	v_and_or_b32 v7, v6, 63, v0
	v_xor_b32_e32 v3, 8, v5
	s_waitcnt lgkmcnt(0)
	v_cndmask_b32_e32 v2, 0, v2, vcc
	v_add_u32_e32 v1, v2, v1
	v_lshlrev_b32_e32 v2, 2, v7
	ds_bpermute_b32 v2, v2, v1
	v_cmp_gt_i32_e32 vcc, s10, v6
	v_and_or_b32 v7, v3, 63, v0
	v_xor_b32_e32 v6, 16, v5
	s_waitcnt lgkmcnt(0)
	v_cndmask_b32_e32 v2, 0, v2, vcc
	v_add_u32_e32 v1, v2, v1
	v_lshlrev_b32_e32 v2, 2, v7
	ds_bpermute_b32 v2, v2, v1
	v_cmp_gt_i32_e32 vcc, s10, v3
	v_and_or_b32 v7, v6, 63, v0
	v_xor_b32_e32 v3, 32, v5
	v_and_or_b32 v0, v3, 63, v0
	s_waitcnt lgkmcnt(0)
	v_cndmask_b32_e32 v2, 0, v2, vcc
	v_add_u32_e32 v1, v2, v1
	v_lshlrev_b32_e32 v2, 2, v7
	ds_bpermute_b32 v2, v2, v1
	v_cmp_gt_i32_e32 vcc, s10, v6
	v_lshlrev_b32_e32 v0, 2, v0
	s_waitcnt lgkmcnt(0)
	v_cndmask_b32_e32 v2, 0, v2, vcc
	v_add_u32_e32 v1, v2, v1
	ds_bpermute_b32 v0, v0, v1
	v_cmp_gt_i32_e32 vcc, s10, v3
	s_waitcnt lgkmcnt(0)
	v_cndmask_b32_e32 v0, 0, v0, vcc
	v_add_u32_e32 v6, v0, v1
	s_cbranch_execnz .LBB5_97
.LBB5_96:
	v_and_b32_e32 v0, 64, v4
	v_add_u32_e32 v0, 64, v0
	v_xor_b32_e32 v1, 1, v4
	v_cmp_lt_i32_e32 vcc, v1, v0
	v_cndmask_b32_e32 v1, v4, v1, vcc
	v_lshlrev_b32_e32 v1, 2, v1
	ds_bpermute_b32 v1, v1, v8
	v_xor_b32_e32 v2, 2, v4
	v_cmp_lt_i32_e32 vcc, v2, v0
	v_cndmask_b32_e32 v2, v4, v2, vcc
	v_lshlrev_b32_e32 v2, 2, v2
	s_waitcnt lgkmcnt(0)
	v_add_u32_e32 v1, v1, v8
	ds_bpermute_b32 v2, v2, v1
	v_xor_b32_e32 v3, 4, v4
	v_cmp_lt_i32_e32 vcc, v3, v0
	s_waitcnt lgkmcnt(0)
	v_add_u32_e32 v1, v2, v1
	v_cndmask_b32_e32 v2, v4, v3, vcc
	v_lshlrev_b32_e32 v2, 2, v2
	ds_bpermute_b32 v2, v2, v1
	v_xor_b32_e32 v3, 8, v4
	v_cmp_lt_i32_e32 vcc, v3, v0
	s_waitcnt lgkmcnt(0)
	v_add_u32_e32 v1, v2, v1
	v_cndmask_b32_e32 v2, v4, v3, vcc
	v_lshlrev_b32_e32 v2, 2, v2
	;; [unrolled: 7-line block ×3, first 2 shown]
	ds_bpermute_b32 v2, v2, v1
	v_xor_b32_e32 v3, 32, v4
	v_cmp_lt_i32_e32 vcc, v3, v0
	v_cndmask_b32_e32 v0, v4, v3, vcc
	v_lshlrev_b32_e32 v0, 2, v0
	s_waitcnt lgkmcnt(0)
	v_add_u32_e32 v1, v2, v1
	ds_bpermute_b32 v0, v0, v1
	s_waitcnt lgkmcnt(0)
	v_add_u32_e32 v6, v0, v1
.LBB5_97:
	v_ashrrev_i32_e32 v7, 31, v5
	s_load_dword s7, s[4:5], 0xb8
	v_lshrrev_b32_e32 v0, 26, v7
	v_add_u32_e32 v0, v5, v0
	v_ashrrev_i32_e32 v9, 6, v0
	v_and_b32_e32 v0, 0xffffffc0, v0
	v_sub_u32_e32 v0, v5, v0
	s_cmp_gt_i32 s10, 64
	s_cselect_b64 s[4:5], -1, 0
	s_cmpk_lt_i32 s10, 0x41
	v_ashrrev_i32_e32 v1, 31, v0
	s_cbranch_scc1 .LBB5_105
; %bb.98:
	v_cmp_eq_u32_e32 vcc, 0, v0
	s_and_saveexec_b64 s[20:21], vcc
	s_cbranch_execz .LBB5_100
; %bb.99:
	v_lshlrev_b32_e32 v2, 2, v9
	ds_write_b32 v2, v6 offset:128
.LBB5_100:
	s_or_b64 exec, exec, s[20:21]
	v_add_co_u32_e32 v2, vcc, 63, v5
	v_addc_co_u32_e32 v3, vcc, 0, v7, vcc
	s_mov_b64 s[20:21], 0x7f
	v_cmp_gt_u64_e32 vcc, s[20:21], v[2:3]
	s_waitcnt lgkmcnt(0)
	s_barrier
	s_and_saveexec_b64 s[20:21], vcc
	s_cbranch_execz .LBB5_104
; %bb.101:
	v_lshlrev_b64 v[2:3], 6, v[0:1]
	v_cmp_gt_i64_e32 vcc, s[10:11], v[2:3]
	v_mov_b32_e32 v2, s3
	s_and_saveexec_b64 s[22:23], vcc
	s_cbranch_execz .LBB5_103
; %bb.102:
	v_lshlrev_b32_e32 v2, 2, v0
	ds_read_b32 v2, v2 offset:128
.LBB5_103:
	s_or_b64 exec, exec, s[22:23]
	v_and_b32_e32 v3, 64, v4
	v_add_u32_e32 v3, 64, v3
	v_xor_b32_e32 v6, 1, v4
	v_cmp_lt_i32_e32 vcc, v6, v3
	v_cndmask_b32_e32 v6, v4, v6, vcc
	v_lshlrev_b32_e32 v6, 2, v6
	s_waitcnt lgkmcnt(0)
	ds_bpermute_b32 v6, v6, v2
	v_xor_b32_e32 v10, 2, v4
	v_cmp_lt_i32_e32 vcc, v10, v3
	s_waitcnt lgkmcnt(0)
	v_add_u32_e32 v2, v6, v2
	v_cndmask_b32_e32 v6, v4, v10, vcc
	v_lshlrev_b32_e32 v6, 2, v6
	ds_bpermute_b32 v6, v6, v2
	v_xor_b32_e32 v10, 4, v4
	v_cmp_lt_i32_e32 vcc, v10, v3
	s_waitcnt lgkmcnt(0)
	v_add_u32_e32 v2, v6, v2
	v_cndmask_b32_e32 v6, v4, v10, vcc
	v_lshlrev_b32_e32 v6, 2, v6
	ds_bpermute_b32 v6, v6, v2
	v_xor_b32_e32 v10, 8, v4
	v_cmp_lt_i32_e32 vcc, v10, v3
	v_cndmask_b32_e32 v3, v4, v10, vcc
	v_lshlrev_b32_e32 v3, 2, v3
	s_waitcnt lgkmcnt(0)
	v_add_u32_e32 v2, v6, v2
	ds_bpermute_b32 v3, v3, v2
	s_waitcnt lgkmcnt(0)
	v_add_u32_e32 v6, v3, v2
.LBB5_104:
	s_or_b64 exec, exec, s[20:21]
	s_barrier
.LBB5_105:
	s_mul_i32 s2, s0, s2
	s_mul_i32 s0, s1, s0
	s_add_i32 s2, s2, s6
	s_mul_i32 s1, s0, s8
	s_add_i32 s1, s2, s1
	s_waitcnt lgkmcnt(0)
	s_mul_i32 s6, s7, s0
	s_ashr_i32 s0, s1, 31
	s_lshr_b32 s0, s0, 27
	s_add_i32 s8, s1, s0
	s_and_b32 s0, s8, 0xffffffe0
	s_sub_i32 s2, s1, s0
	s_ashr_i32 s0, s6, 31
	s_lshr_b32 s0, s0, 27
	s_add_i32 s0, s6, s0
	s_ashr_i32 s7, s0, 5
	s_andn2_b32 s0, s0, 31
	s_sub_i32 s0, s6, s0
	s_cmp_lt_i32 s2, s0
	s_cselect_b64 s[0:1], -1, 0
	s_cmp_lg_u64 s[0:1], 0
	s_addc_u32 s20, s7, 0
	s_cmp_gt_u32 s20, 1
	v_cmp_eq_u32_e64 s[0:1], 0, v5
	s_cbranch_scc0 .LBB5_126
; %bb.106:
	s_add_i32 s6, s6, 31
	s_ashr_i32 s7, s6, 31
	s_lshr_b32 s7, s7, 27
	s_add_i32 s6, s6, s7
	s_ashr_i32 s21, s6, 5
	s_mul_i32 s21, s21, s2
	s_and_saveexec_b64 s[6:7], s[0:1]
	s_cbranch_execz .LBB5_108
; %bb.107:
	s_ashr_i32 s9, s8, 5
	s_add_i32 s22, s21, s9
	s_ashr_i32 s23, s22, 31
	s_lshl_b32 s8, s2, 4
	s_lshl_b64 s[22:23], s[22:23], 2
	s_add_u32 s22, s18, s22
	s_addc_u32 s23, s19, s23
	s_ashr_i32 s9, s8, 31
	s_lshl_b64 s[8:9], s[8:9], 2
	s_add_u32 s8, s16, s8
	v_pk_mov_b32 v[2:3], s[22:23], s[22:23] op_sel:[0,1]
	s_addc_u32 s9, s17, s9
	s_add_i32 s16, s20, -1
	flat_store_dword v[2:3], v6
	v_mov_b32_e32 v2, 0
	v_mov_b32_e32 v3, s16
	s_waitcnt vmcnt(0) lgkmcnt(0)
	global_atomic_inc v3, v2, v3, s[8:9] glc
	s_waitcnt vmcnt(0)
	v_cmp_eq_u32_e32 vcc, s16, v3
	v_cndmask_b32_e64 v3, 0, 1, vcc
	ds_write_b8 v2, v3 offset:194
.LBB5_108:
	s_or_b64 exec, exec, s[6:7]
	v_mov_b32_e32 v2, 0
	s_waitcnt lgkmcnt(0)
	s_barrier
	ds_read_u8 v2, v2 offset:194
	s_mov_b64 s[6:7], 0
	s_waitcnt lgkmcnt(0)
	v_cmp_eq_u32_e32 vcc, 0, v2
	v_mov_b32_e32 v2, v8
	s_cbranch_vccnz .LBB5_125
; %bb.109:
	v_cmp_gt_u32_e32 vcc, s20, v5
	v_mov_b32_e32 v10, s3
	s_and_saveexec_b64 s[6:7], vcc
	s_cbranch_execz .LBB5_113
; %bb.110:
	s_mov_b64 s[8:9], 0
	v_mov_b32_e32 v10, s3
	v_mov_b32_e32 v3, 0
	;; [unrolled: 1-line block ×4, first 2 shown]
.LBB5_111:                              ; =>This Inner Loop Header: Depth=1
	v_add_u32_e32 v2, s21, v12
	v_lshlrev_b64 v[14:15], 2, v[2:3]
	v_add_co_u32_e32 v14, vcc, s18, v14
	v_addc_co_u32_e32 v15, vcc, v11, v15, vcc
	flat_load_dword v2, v[14:15] glc
	v_add_u32_e32 v12, s10, v12
	v_cmp_le_u32_e32 vcc, s20, v12
	s_or_b64 s[8:9], vcc, s[8:9]
	s_waitcnt vmcnt(0) lgkmcnt(0)
	v_add_u32_e32 v10, v2, v10
	s_andn2_b64 exec, exec, s[8:9]
	s_cbranch_execnz .LBB5_111
; %bb.112:
	s_or_b64 exec, exec, s[8:9]
.LBB5_113:
	s_or_b64 exec, exec, s[6:7]
	s_andn2_b64 vcc, exec, s[12:13]
	s_cbranch_vccnz .LBB5_135
; %bb.114:
	v_and_b32_e32 v2, 64, v4
	v_xor_b32_e32 v3, 1, v5
	v_and_or_b32 v11, v3, 63, v2
	v_lshlrev_b32_e32 v11, 2, v11
	ds_bpermute_b32 v11, v11, v10
	v_xor_b32_e32 v12, 2, v5
	v_cmp_gt_i32_e32 vcc, s10, v3
	v_and_or_b32 v13, v12, 63, v2
	s_waitcnt lgkmcnt(0)
	v_cndmask_b32_e32 v3, 0, v11, vcc
	v_add_u32_e32 v3, v3, v10
	v_lshlrev_b32_e32 v11, 2, v13
	ds_bpermute_b32 v11, v11, v3
	v_xor_b32_e32 v13, 4, v5
	v_cmp_gt_i32_e32 vcc, s10, v12
	v_and_or_b32 v14, v13, 63, v2
	v_xor_b32_e32 v12, 8, v5
	s_waitcnt lgkmcnt(0)
	v_cndmask_b32_e32 v11, 0, v11, vcc
	v_add_u32_e32 v3, v11, v3
	v_lshlrev_b32_e32 v11, 2, v14
	ds_bpermute_b32 v11, v11, v3
	v_cmp_gt_i32_e32 vcc, s10, v13
	v_and_or_b32 v14, v12, 63, v2
	v_xor_b32_e32 v13, 16, v5
	s_waitcnt lgkmcnt(0)
	v_cndmask_b32_e32 v11, 0, v11, vcc
	v_add_u32_e32 v3, v11, v3
	v_lshlrev_b32_e32 v11, 2, v14
	ds_bpermute_b32 v11, v11, v3
	v_cmp_gt_i32_e32 vcc, s10, v12
	v_and_or_b32 v14, v13, 63, v2
	v_xor_b32_e32 v12, 32, v5
	v_and_or_b32 v2, v12, 63, v2
	s_waitcnt lgkmcnt(0)
	v_cndmask_b32_e32 v11, 0, v11, vcc
	v_add_u32_e32 v3, v11, v3
	v_lshlrev_b32_e32 v11, 2, v14
	ds_bpermute_b32 v11, v11, v3
	v_cmp_gt_i32_e32 vcc, s10, v13
	v_lshlrev_b32_e32 v2, 2, v2
	s_waitcnt lgkmcnt(0)
	v_cndmask_b32_e32 v11, 0, v11, vcc
	v_add_u32_e32 v3, v11, v3
	ds_bpermute_b32 v2, v2, v3
	v_cmp_gt_i32_e32 vcc, s10, v12
	s_waitcnt lgkmcnt(0)
	v_cndmask_b32_e32 v2, 0, v2, vcc
	v_add_u32_e32 v2, v2, v3
	s_cbranch_execnz .LBB5_116
.LBB5_115:
	v_and_b32_e32 v2, 64, v4
	v_add_u32_e32 v2, 64, v2
	v_xor_b32_e32 v3, 1, v4
	v_cmp_lt_i32_e32 vcc, v3, v2
	v_cndmask_b32_e32 v3, v4, v3, vcc
	v_lshlrev_b32_e32 v3, 2, v3
	ds_bpermute_b32 v3, v3, v10
	v_xor_b32_e32 v11, 2, v4
	v_cmp_lt_i32_e32 vcc, v11, v2
	s_waitcnt lgkmcnt(0)
	v_add_u32_e32 v3, v3, v10
	v_cndmask_b32_e32 v10, v4, v11, vcc
	v_lshlrev_b32_e32 v10, 2, v10
	ds_bpermute_b32 v10, v10, v3
	v_xor_b32_e32 v11, 4, v4
	v_cmp_lt_i32_e32 vcc, v11, v2
	s_waitcnt lgkmcnt(0)
	v_add_u32_e32 v3, v10, v3
	;; [unrolled: 7-line block ×4, first 2 shown]
	v_cndmask_b32_e32 v10, v4, v11, vcc
	v_lshlrev_b32_e32 v10, 2, v10
	ds_bpermute_b32 v10, v10, v3
	v_xor_b32_e32 v11, 32, v4
	v_cmp_lt_i32_e32 vcc, v11, v2
	v_cndmask_b32_e32 v2, v4, v11, vcc
	v_lshlrev_b32_e32 v2, 2, v2
	s_waitcnt lgkmcnt(0)
	v_add_u32_e32 v3, v10, v3
	ds_bpermute_b32 v2, v2, v3
	s_waitcnt lgkmcnt(0)
	v_add_u32_e32 v2, v2, v3
.LBB5_116:
	s_andn2_b64 vcc, exec, s[4:5]
	s_cbranch_vccnz .LBB5_124
; %bb.117:
	v_cmp_eq_u32_e32 vcc, 0, v0
	s_and_saveexec_b64 s[4:5], vcc
	s_cbranch_execz .LBB5_119
; %bb.118:
	v_lshlrev_b32_e32 v3, 2, v9
	ds_write_b32 v3, v2 offset:128
.LBB5_119:
	s_or_b64 exec, exec, s[4:5]
	v_add_co_u32_e32 v10, vcc, 63, v5
	v_addc_co_u32_e32 v11, vcc, 0, v7, vcc
	s_mov_b64 s[4:5], 0x7f
	v_cmp_gt_u64_e32 vcc, s[4:5], v[10:11]
	s_waitcnt lgkmcnt(0)
	s_barrier
	s_and_saveexec_b64 s[4:5], vcc
	s_cbranch_execz .LBB5_123
; %bb.120:
	v_lshlrev_b64 v[2:3], 6, v[0:1]
	v_cmp_gt_i64_e32 vcc, s[10:11], v[2:3]
	v_mov_b32_e32 v1, s3
	s_and_saveexec_b64 s[6:7], vcc
	s_cbranch_execz .LBB5_122
; %bb.121:
	v_lshlrev_b32_e32 v0, 2, v0
	ds_read_b32 v1, v0 offset:128
.LBB5_122:
	s_or_b64 exec, exec, s[6:7]
	v_and_b32_e32 v0, 64, v4
	v_add_u32_e32 v0, 64, v0
	v_xor_b32_e32 v2, 1, v4
	v_cmp_lt_i32_e32 vcc, v2, v0
	v_cndmask_b32_e32 v2, v4, v2, vcc
	v_lshlrev_b32_e32 v2, 2, v2
	s_waitcnt lgkmcnt(0)
	ds_bpermute_b32 v2, v2, v1
	v_xor_b32_e32 v3, 2, v4
	v_cmp_lt_i32_e32 vcc, v3, v0
	s_waitcnt lgkmcnt(0)
	v_add_u32_e32 v1, v2, v1
	v_cndmask_b32_e32 v2, v4, v3, vcc
	v_lshlrev_b32_e32 v2, 2, v2
	ds_bpermute_b32 v2, v2, v1
	v_xor_b32_e32 v3, 4, v4
	v_cmp_lt_i32_e32 vcc, v3, v0
	s_waitcnt lgkmcnt(0)
	v_add_u32_e32 v1, v2, v1
	v_cndmask_b32_e32 v2, v4, v3, vcc
	v_lshlrev_b32_e32 v2, 2, v2
	ds_bpermute_b32 v2, v2, v1
	v_xor_b32_e32 v3, 8, v4
	v_cmp_lt_i32_e32 vcc, v3, v0
	v_cndmask_b32_e32 v0, v4, v3, vcc
	v_lshlrev_b32_e32 v0, 2, v0
	s_waitcnt lgkmcnt(0)
	v_add_u32_e32 v1, v2, v1
	ds_bpermute_b32 v0, v0, v1
	s_waitcnt lgkmcnt(0)
	v_add_u32_e32 v2, v0, v1
.LBB5_123:
	s_or_b64 exec, exec, s[4:5]
	s_barrier
.LBB5_124:
	v_mov_b32_e32 v0, 0
	ds_read_u8 v0, v0 offset:194
	v_cndmask_b32_e64 v2, v8, v2, s[0:1]
	s_waitcnt lgkmcnt(0)
	v_and_b32_e32 v0, 1, v0
	v_cmp_eq_u32_e64 s[6:7], 1, v0
.LBB5_125:
	s_and_b64 s[4:5], s[0:1], s[6:7]
	s_branch .LBB5_128
.LBB5_126:
                                        ; implicit-def: $sgpr4_sgpr5
                                        ; implicit-def: $vgpr2
	s_cbranch_execz .LBB5_128
; %bb.127:
	v_cndmask_b32_e64 v2, v8, v6, s[0:1]
	s_andn2_b64 s[4:5], s[4:5], exec
	s_and_b64 s[0:1], s[0:1], exec
	s_or_b64 s[4:5], s[4:5], s[0:1]
.LBB5_128:
	s_and_saveexec_b64 s[0:1], s[4:5]
	s_cbranch_execz .LBB5_19
; %bb.129:
	s_ashr_i32 s3, s2, 31
	s_lshl_b64 s[0:1], s[2:3], 2
	s_add_u32 s0, s14, s0
	s_addc_u32 s1, s15, s1
	v_pk_mov_b32 v[0:1], s[0:1], s[0:1] op_sel:[0,1]
	flat_store_dword v[0:1], v2
	s_endpgm
.LBB5_130:
                                        ; implicit-def: $vgpr11
	s_branch .LBB5_22
.LBB5_131:
                                        ; implicit-def: $vgpr10
	s_branch .LBB5_59
.LBB5_132:
                                        ; implicit-def: $vgpr6
	s_branch .LBB5_96
.LBB5_133:
                                        ; implicit-def: $vgpr4
	s_branch .LBB5_41
.LBB5_134:
                                        ; implicit-def: $vgpr4
	s_branch .LBB5_78
.LBB5_135:
                                        ; implicit-def: $vgpr2
	s_branch .LBB5_115
	.section	.rodata,"a",@progbits
	.p2align	6, 0x0
	.amdhsa_kernel _ZN4RAJA6policy3hip4impl18forallp_hip_kernelINS1_8hip_execINS_17iteration_mapping11StridedLoopILm0EEENS_3hip11IndexGlobalILNS_9named_dimE0ELi256ELi0EEENS8_40AvoidDeviceMaxThreadOccupancyConcretizerINS8_34FractionOffsetOccupancyConcretizerINS_8FractionImLm1ELm1EEELln1EEEEELb1EEENS_9Iterators16numeric_iteratorIllPlEEZN8rajaperf5basic11REDUCE3_INT17runHipVariantRAJAILm256ENSN_13gpu_algorithm19block_device_helperENSN_11gpu_mapping40global_loop_occupancy_grid_stride_helperEEEvNSN_9VariantIDEEUllE_lNS_4expt15ForallParamPackIJEEES7_SB_TnNSt9enable_ifIXaaaasr3std10is_base_ofINS5_15StridedLoopBaseET4_EE5valuesr3std10is_base_ofINS5_15UnsizedLoopBaseES12_EE5valuegtsrT5_10block_sizeLi0EEmE4typeELm256EEEvT1_T0_T2_T3_
		.amdhsa_group_segment_fixed_size 195
		.amdhsa_private_segment_fixed_size 0
		.amdhsa_kernarg_size 432
		.amdhsa_user_sgpr_count 6
		.amdhsa_user_sgpr_private_segment_buffer 1
		.amdhsa_user_sgpr_dispatch_ptr 0
		.amdhsa_user_sgpr_queue_ptr 0
		.amdhsa_user_sgpr_kernarg_segment_ptr 1
		.amdhsa_user_sgpr_dispatch_id 0
		.amdhsa_user_sgpr_flat_scratch_init 0
		.amdhsa_user_sgpr_kernarg_preload_length 0
		.amdhsa_user_sgpr_kernarg_preload_offset 0
		.amdhsa_user_sgpr_private_segment_size 0
		.amdhsa_uses_dynamic_stack 0
		.amdhsa_system_sgpr_private_segment_wavefront_offset 0
		.amdhsa_system_sgpr_workgroup_id_x 1
		.amdhsa_system_sgpr_workgroup_id_y 1
		.amdhsa_system_sgpr_workgroup_id_z 1
		.amdhsa_system_sgpr_workgroup_info 0
		.amdhsa_system_vgpr_workitem_id 2
		.amdhsa_next_free_vgpr 23
		.amdhsa_next_free_sgpr 48
		.amdhsa_accum_offset 24
		.amdhsa_reserve_vcc 1
		.amdhsa_reserve_flat_scratch 0
		.amdhsa_float_round_mode_32 0
		.amdhsa_float_round_mode_16_64 0
		.amdhsa_float_denorm_mode_32 3
		.amdhsa_float_denorm_mode_16_64 3
		.amdhsa_dx10_clamp 1
		.amdhsa_ieee_mode 1
		.amdhsa_fp16_overflow 0
		.amdhsa_tg_split 0
		.amdhsa_exception_fp_ieee_invalid_op 0
		.amdhsa_exception_fp_denorm_src 0
		.amdhsa_exception_fp_ieee_div_zero 0
		.amdhsa_exception_fp_ieee_overflow 0
		.amdhsa_exception_fp_ieee_underflow 0
		.amdhsa_exception_fp_ieee_inexact 0
		.amdhsa_exception_int_div_zero 0
	.end_amdhsa_kernel
	.section	.text._ZN4RAJA6policy3hip4impl18forallp_hip_kernelINS1_8hip_execINS_17iteration_mapping11StridedLoopILm0EEENS_3hip11IndexGlobalILNS_9named_dimE0ELi256ELi0EEENS8_40AvoidDeviceMaxThreadOccupancyConcretizerINS8_34FractionOffsetOccupancyConcretizerINS_8FractionImLm1ELm1EEELln1EEEEELb1EEENS_9Iterators16numeric_iteratorIllPlEEZN8rajaperf5basic11REDUCE3_INT17runHipVariantRAJAILm256ENSN_13gpu_algorithm19block_device_helperENSN_11gpu_mapping40global_loop_occupancy_grid_stride_helperEEEvNSN_9VariantIDEEUllE_lNS_4expt15ForallParamPackIJEEES7_SB_TnNSt9enable_ifIXaaaasr3std10is_base_ofINS5_15StridedLoopBaseET4_EE5valuesr3std10is_base_ofINS5_15UnsizedLoopBaseES12_EE5valuegtsrT5_10block_sizeLi0EEmE4typeELm256EEEvT1_T0_T2_T3_,"axG",@progbits,_ZN4RAJA6policy3hip4impl18forallp_hip_kernelINS1_8hip_execINS_17iteration_mapping11StridedLoopILm0EEENS_3hip11IndexGlobalILNS_9named_dimE0ELi256ELi0EEENS8_40AvoidDeviceMaxThreadOccupancyConcretizerINS8_34FractionOffsetOccupancyConcretizerINS_8FractionImLm1ELm1EEELln1EEEEELb1EEENS_9Iterators16numeric_iteratorIllPlEEZN8rajaperf5basic11REDUCE3_INT17runHipVariantRAJAILm256ENSN_13gpu_algorithm19block_device_helperENSN_11gpu_mapping40global_loop_occupancy_grid_stride_helperEEEvNSN_9VariantIDEEUllE_lNS_4expt15ForallParamPackIJEEES7_SB_TnNSt9enable_ifIXaaaasr3std10is_base_ofINS5_15StridedLoopBaseET4_EE5valuesr3std10is_base_ofINS5_15UnsizedLoopBaseES12_EE5valuegtsrT5_10block_sizeLi0EEmE4typeELm256EEEvT1_T0_T2_T3_,comdat
.Lfunc_end5:
	.size	_ZN4RAJA6policy3hip4impl18forallp_hip_kernelINS1_8hip_execINS_17iteration_mapping11StridedLoopILm0EEENS_3hip11IndexGlobalILNS_9named_dimE0ELi256ELi0EEENS8_40AvoidDeviceMaxThreadOccupancyConcretizerINS8_34FractionOffsetOccupancyConcretizerINS_8FractionImLm1ELm1EEELln1EEEEELb1EEENS_9Iterators16numeric_iteratorIllPlEEZN8rajaperf5basic11REDUCE3_INT17runHipVariantRAJAILm256ENSN_13gpu_algorithm19block_device_helperENSN_11gpu_mapping40global_loop_occupancy_grid_stride_helperEEEvNSN_9VariantIDEEUllE_lNS_4expt15ForallParamPackIJEEES7_SB_TnNSt9enable_ifIXaaaasr3std10is_base_ofINS5_15StridedLoopBaseET4_EE5valuesr3std10is_base_ofINS5_15UnsizedLoopBaseES12_EE5valuegtsrT5_10block_sizeLi0EEmE4typeELm256EEEvT1_T0_T2_T3_, .Lfunc_end5-_ZN4RAJA6policy3hip4impl18forallp_hip_kernelINS1_8hip_execINS_17iteration_mapping11StridedLoopILm0EEENS_3hip11IndexGlobalILNS_9named_dimE0ELi256ELi0EEENS8_40AvoidDeviceMaxThreadOccupancyConcretizerINS8_34FractionOffsetOccupancyConcretizerINS_8FractionImLm1ELm1EEELln1EEEEELb1EEENS_9Iterators16numeric_iteratorIllPlEEZN8rajaperf5basic11REDUCE3_INT17runHipVariantRAJAILm256ENSN_13gpu_algorithm19block_device_helperENSN_11gpu_mapping40global_loop_occupancy_grid_stride_helperEEEvNSN_9VariantIDEEUllE_lNS_4expt15ForallParamPackIJEEES7_SB_TnNSt9enable_ifIXaaaasr3std10is_base_ofINS5_15StridedLoopBaseET4_EE5valuesr3std10is_base_ofINS5_15UnsizedLoopBaseES12_EE5valuegtsrT5_10block_sizeLi0EEmE4typeELm256EEEvT1_T0_T2_T3_
                                        ; -- End function
	.section	.AMDGPU.csdata,"",@progbits
; Kernel info:
; codeLenInByte = 7960
; NumSgprs: 52
; NumVgprs: 23
; NumAgprs: 0
; TotalNumVgprs: 23
; ScratchSize: 0
; MemoryBound: 0
; FloatMode: 240
; IeeeMode: 1
; LDSByteSize: 195 bytes/workgroup (compile time only)
; SGPRBlocks: 6
; VGPRBlocks: 2
; NumSGPRsForWavesPerEU: 52
; NumVGPRsForWavesPerEU: 23
; AccumOffset: 24
; Occupancy: 8
; WaveLimiterHint : 1
; COMPUTE_PGM_RSRC2:SCRATCH_EN: 0
; COMPUTE_PGM_RSRC2:USER_SGPR: 6
; COMPUTE_PGM_RSRC2:TRAP_HANDLER: 0
; COMPUTE_PGM_RSRC2:TGID_X_EN: 1
; COMPUTE_PGM_RSRC2:TGID_Y_EN: 1
; COMPUTE_PGM_RSRC2:TGID_Z_EN: 1
; COMPUTE_PGM_RSRC2:TIDIG_COMP_CNT: 2
; COMPUTE_PGM_RSRC3_GFX90A:ACCUM_OFFSET: 5
; COMPUTE_PGM_RSRC3_GFX90A:TG_SPLIT: 0
	.section	.text._ZN4RAJA6policy3hip4impl18forallp_hip_kernelINS1_8hip_execINS_17iteration_mapping11StridedLoopILm0EEENS_3hip11IndexGlobalILNS_9named_dimE0ELi256ELi0EEENS8_40AvoidDeviceMaxThreadOccupancyConcretizerINS8_34FractionOffsetOccupancyConcretizerINS_8FractionImLm1ELm1EEELln1EEEEELb1EEENS_9Iterators16numeric_iteratorIllPlEEZN8rajaperf5basic11REDUCE3_INT26runHipVariantRAJANewReduceILm256ENSN_11gpu_mapping40global_loop_occupancy_grid_stride_helperEEEvNSN_9VariantIDEEUllRNS_4expt5ValOpIiNS_9operators4plusEEERNSV_IiNSW_7minimumEEERNSV_IiNSW_7maximumEEEE_lNSU_15ForallParamPackIJNSU_6detail7ReducerINSX_IiiiEEiSY_EENS19_INS10_IiiiEEiS11_EENS19_INS13_IiiiEEiS14_EEEEES7_SB_TnNSt9enable_ifIXaaaasr3std10is_base_ofINS5_15StridedLoopBaseET4_EE5valuesr3std10is_base_ofINS5_15UnsizedLoopBaseES1J_EE5valuegtsrT5_10block_sizeLi0EEmE4typeELm256EEEvT1_T0_T2_T3_,"axG",@progbits,_ZN4RAJA6policy3hip4impl18forallp_hip_kernelINS1_8hip_execINS_17iteration_mapping11StridedLoopILm0EEENS_3hip11IndexGlobalILNS_9named_dimE0ELi256ELi0EEENS8_40AvoidDeviceMaxThreadOccupancyConcretizerINS8_34FractionOffsetOccupancyConcretizerINS_8FractionImLm1ELm1EEELln1EEEEELb1EEENS_9Iterators16numeric_iteratorIllPlEEZN8rajaperf5basic11REDUCE3_INT26runHipVariantRAJANewReduceILm256ENSN_11gpu_mapping40global_loop_occupancy_grid_stride_helperEEEvNSN_9VariantIDEEUllRNS_4expt5ValOpIiNS_9operators4plusEEERNSV_IiNSW_7minimumEEERNSV_IiNSW_7maximumEEEE_lNSU_15ForallParamPackIJNSU_6detail7ReducerINSX_IiiiEEiSY_EENS19_INS10_IiiiEEiS11_EENS19_INS13_IiiiEEiS14_EEEEES7_SB_TnNSt9enable_ifIXaaaasr3std10is_base_ofINS5_15StridedLoopBaseET4_EE5valuesr3std10is_base_ofINS5_15UnsizedLoopBaseES1J_EE5valuegtsrT5_10block_sizeLi0EEmE4typeELm256EEEvT1_T0_T2_T3_,comdat
	.protected	_ZN4RAJA6policy3hip4impl18forallp_hip_kernelINS1_8hip_execINS_17iteration_mapping11StridedLoopILm0EEENS_3hip11IndexGlobalILNS_9named_dimE0ELi256ELi0EEENS8_40AvoidDeviceMaxThreadOccupancyConcretizerINS8_34FractionOffsetOccupancyConcretizerINS_8FractionImLm1ELm1EEELln1EEEEELb1EEENS_9Iterators16numeric_iteratorIllPlEEZN8rajaperf5basic11REDUCE3_INT26runHipVariantRAJANewReduceILm256ENSN_11gpu_mapping40global_loop_occupancy_grid_stride_helperEEEvNSN_9VariantIDEEUllRNS_4expt5ValOpIiNS_9operators4plusEEERNSV_IiNSW_7minimumEEERNSV_IiNSW_7maximumEEEE_lNSU_15ForallParamPackIJNSU_6detail7ReducerINSX_IiiiEEiSY_EENS19_INS10_IiiiEEiS11_EENS19_INS13_IiiiEEiS14_EEEEES7_SB_TnNSt9enable_ifIXaaaasr3std10is_base_ofINS5_15StridedLoopBaseET4_EE5valuesr3std10is_base_ofINS5_15UnsizedLoopBaseES1J_EE5valuegtsrT5_10block_sizeLi0EEmE4typeELm256EEEvT1_T0_T2_T3_ ; -- Begin function _ZN4RAJA6policy3hip4impl18forallp_hip_kernelINS1_8hip_execINS_17iteration_mapping11StridedLoopILm0EEENS_3hip11IndexGlobalILNS_9named_dimE0ELi256ELi0EEENS8_40AvoidDeviceMaxThreadOccupancyConcretizerINS8_34FractionOffsetOccupancyConcretizerINS_8FractionImLm1ELm1EEELln1EEEEELb1EEENS_9Iterators16numeric_iteratorIllPlEEZN8rajaperf5basic11REDUCE3_INT26runHipVariantRAJANewReduceILm256ENSN_11gpu_mapping40global_loop_occupancy_grid_stride_helperEEEvNSN_9VariantIDEEUllRNS_4expt5ValOpIiNS_9operators4plusEEERNSV_IiNSW_7minimumEEERNSV_IiNSW_7maximumEEEE_lNSU_15ForallParamPackIJNSU_6detail7ReducerINSX_IiiiEEiSY_EENS19_INS10_IiiiEEiS11_EENS19_INS13_IiiiEEiS14_EEEEES7_SB_TnNSt9enable_ifIXaaaasr3std10is_base_ofINS5_15StridedLoopBaseET4_EE5valuesr3std10is_base_ofINS5_15UnsizedLoopBaseES1J_EE5valuegtsrT5_10block_sizeLi0EEmE4typeELm256EEEvT1_T0_T2_T3_
	.globl	_ZN4RAJA6policy3hip4impl18forallp_hip_kernelINS1_8hip_execINS_17iteration_mapping11StridedLoopILm0EEENS_3hip11IndexGlobalILNS_9named_dimE0ELi256ELi0EEENS8_40AvoidDeviceMaxThreadOccupancyConcretizerINS8_34FractionOffsetOccupancyConcretizerINS_8FractionImLm1ELm1EEELln1EEEEELb1EEENS_9Iterators16numeric_iteratorIllPlEEZN8rajaperf5basic11REDUCE3_INT26runHipVariantRAJANewReduceILm256ENSN_11gpu_mapping40global_loop_occupancy_grid_stride_helperEEEvNSN_9VariantIDEEUllRNS_4expt5ValOpIiNS_9operators4plusEEERNSV_IiNSW_7minimumEEERNSV_IiNSW_7maximumEEEE_lNSU_15ForallParamPackIJNSU_6detail7ReducerINSX_IiiiEEiSY_EENS19_INS10_IiiiEEiS11_EENS19_INS13_IiiiEEiS14_EEEEES7_SB_TnNSt9enable_ifIXaaaasr3std10is_base_ofINS5_15StridedLoopBaseET4_EE5valuesr3std10is_base_ofINS5_15UnsizedLoopBaseES1J_EE5valuegtsrT5_10block_sizeLi0EEmE4typeELm256EEEvT1_T0_T2_T3_
	.p2align	8
	.type	_ZN4RAJA6policy3hip4impl18forallp_hip_kernelINS1_8hip_execINS_17iteration_mapping11StridedLoopILm0EEENS_3hip11IndexGlobalILNS_9named_dimE0ELi256ELi0EEENS8_40AvoidDeviceMaxThreadOccupancyConcretizerINS8_34FractionOffsetOccupancyConcretizerINS_8FractionImLm1ELm1EEELln1EEEEELb1EEENS_9Iterators16numeric_iteratorIllPlEEZN8rajaperf5basic11REDUCE3_INT26runHipVariantRAJANewReduceILm256ENSN_11gpu_mapping40global_loop_occupancy_grid_stride_helperEEEvNSN_9VariantIDEEUllRNS_4expt5ValOpIiNS_9operators4plusEEERNSV_IiNSW_7minimumEEERNSV_IiNSW_7maximumEEEE_lNSU_15ForallParamPackIJNSU_6detail7ReducerINSX_IiiiEEiSY_EENS19_INS10_IiiiEEiS11_EENS19_INS13_IiiiEEiS14_EEEEES7_SB_TnNSt9enable_ifIXaaaasr3std10is_base_ofINS5_15StridedLoopBaseET4_EE5valuesr3std10is_base_ofINS5_15UnsizedLoopBaseES1J_EE5valuegtsrT5_10block_sizeLi0EEmE4typeELm256EEEvT1_T0_T2_T3_,@function
_ZN4RAJA6policy3hip4impl18forallp_hip_kernelINS1_8hip_execINS_17iteration_mapping11StridedLoopILm0EEENS_3hip11IndexGlobalILNS_9named_dimE0ELi256ELi0EEENS8_40AvoidDeviceMaxThreadOccupancyConcretizerINS8_34FractionOffsetOccupancyConcretizerINS_8FractionImLm1ELm1EEELln1EEEEELb1EEENS_9Iterators16numeric_iteratorIllPlEEZN8rajaperf5basic11REDUCE3_INT26runHipVariantRAJANewReduceILm256ENSN_11gpu_mapping40global_loop_occupancy_grid_stride_helperEEEvNSN_9VariantIDEEUllRNS_4expt5ValOpIiNS_9operators4plusEEERNSV_IiNSW_7minimumEEERNSV_IiNSW_7maximumEEEE_lNSU_15ForallParamPackIJNSU_6detail7ReducerINSX_IiiiEEiSY_EENS19_INS10_IiiiEEiS11_EENS19_INS13_IiiiEEiS14_EEEEES7_SB_TnNSt9enable_ifIXaaaasr3std10is_base_ofINS5_15StridedLoopBaseET4_EE5valuesr3std10is_base_ofINS5_15UnsizedLoopBaseES1J_EE5valuegtsrT5_10block_sizeLi0EEmE4typeELm256EEEvT1_T0_T2_T3_: ; @_ZN4RAJA6policy3hip4impl18forallp_hip_kernelINS1_8hip_execINS_17iteration_mapping11StridedLoopILm0EEENS_3hip11IndexGlobalILNS_9named_dimE0ELi256ELi0EEENS8_40AvoidDeviceMaxThreadOccupancyConcretizerINS8_34FractionOffsetOccupancyConcretizerINS_8FractionImLm1ELm1EEELln1EEEEELb1EEENS_9Iterators16numeric_iteratorIllPlEEZN8rajaperf5basic11REDUCE3_INT26runHipVariantRAJANewReduceILm256ENSN_11gpu_mapping40global_loop_occupancy_grid_stride_helperEEEvNSN_9VariantIDEEUllRNS_4expt5ValOpIiNS_9operators4plusEEERNSV_IiNSW_7minimumEEERNSV_IiNSW_7maximumEEEE_lNSU_15ForallParamPackIJNSU_6detail7ReducerINSX_IiiiEEiSY_EENS19_INS10_IiiiEEiS11_EENS19_INS13_IiiiEEiS14_EEEEES7_SB_TnNSt9enable_ifIXaaaasr3std10is_base_ofINS5_15StridedLoopBaseET4_EE5valuesr3std10is_base_ofINS5_15UnsizedLoopBaseES1J_EE5valuegtsrT5_10block_sizeLi0EEmE4typeELm256EEEvT1_T0_T2_T3_
; %bb.0:
	s_load_dwordx2 s[2:3], s[4:5], 0x10
	s_load_dword s33, s[4:5], 0x18
	s_load_dwordx4 s[20:23], s[4:5], 0x28
	s_load_dwordx2 s[30:31], s[4:5], 0x38
	s_load_dword s46, s[4:5], 0x40
	s_load_dwordx4 s[16:19], s[4:5], 0x50
	s_load_dwordx2 s[28:29], s[4:5], 0x60
	s_load_dword s47, s[4:5], 0x68
	s_load_dwordx2 s[26:27], s[4:5], 0x88
	s_load_dwordx4 s[12:15], s[4:5], 0x78
	s_mov_b32 s25, 0
	s_load_dword s24, s[4:5], 0x90
	s_mov_b32 s7, s25
	v_and_b32_e32 v2, 0x3ff, v0
	s_lshl_b64 s[0:1], s[6:7], 8
	v_or_b32_e32 v6, s0, v2
	v_mov_b32_e32 v7, s1
	s_add_u32 s34, s4, 0x90
	v_mov_b32_e32 v5, 0
	v_mov_b32_e32 v4, v2
	s_waitcnt lgkmcnt(0)
	v_cmp_gt_i64_e32 vcc, s[2:3], v[6:7]
	s_addc_u32 s35, s5, 0
	v_mov_b32_e32 v15, s47
	v_mov_b32_e32 v19, s46
	;; [unrolled: 1-line block ×3, first 2 shown]
	s_and_saveexec_b64 s[36:37], vcc
	s_cbranch_execz .LBB6_16
; %bb.1:
	s_load_dwordx4 s[8:11], s[4:5], 0x0
	s_lshl_b64 s[4:5], s[24:25], 8
	v_mov_b32_e32 v1, s5
	v_add_co_u32_e32 v10, vcc, s4, v6
	v_addc_co_u32_e32 v11, vcc, v7, v1, vcc
	v_mov_b32_e32 v1, s3
	v_cmp_gt_i64_e32 vcc, s[2:3], v[10:11]
	v_cndmask_b32_e32 v3, v11, v1, vcc
	v_mov_b32_e32 v1, s2
	v_cndmask_b32_e64 v8, 0, 1, vcc
	v_cndmask_b32_e32 v1, v10, v1, vcc
	v_add_co_u32_e32 v9, vcc, v10, v8
	v_addc_co_u32_e32 v10, vcc, 0, v11, vcc
	v_sub_co_u32_e32 v1, vcc, v1, v9
	v_subb_co_u32_e32 v3, vcc, v3, v10, vcc
	v_or_b32_e32 v11, s5, v3
	v_mov_b32_e32 v10, v5
	v_cmp_ne_u64_e32 vcc, 0, v[10:11]
                                        ; implicit-def: $vgpr10_vgpr11
	s_and_saveexec_b64 s[0:1], vcc
	s_xor_b64 s[38:39], exec, s[0:1]
	s_cbranch_execz .LBB6_3
; %bb.2:
	v_cvt_f32_u32_e32 v9, s4
	v_cvt_f32_ubyte0_e32 v10, s5
	s_sub_u32 s0, 0, s4
	s_subb_u32 s1, 0, s5
	v_madmk_f32 v9, v10, 0x4f800000, v9
	v_rcp_f32_e32 v9, v9
	v_mul_f32_e32 v9, 0x5f7ffffc, v9
	v_mul_f32_e32 v10, 0x2f800000, v9
	v_trunc_f32_e32 v10, v10
	v_madmk_f32 v9, v10, 0xcf800000, v9
	v_cvt_u32_f32_e32 v10, v10
	v_cvt_u32_f32_e32 v9, v9
	v_mul_lo_u32 v11, s0, v10
	v_mul_hi_u32 v13, s0, v9
	v_mul_lo_u32 v12, s1, v9
	v_add_u32_e32 v11, v13, v11
	v_mul_lo_u32 v14, s0, v9
	v_add_u32_e32 v11, v11, v12
	v_mul_hi_u32 v13, v9, v14
	v_mul_lo_u32 v15, v9, v11
	v_mul_hi_u32 v12, v9, v11
	v_add_co_u32_e32 v13, vcc, v13, v15
	v_addc_co_u32_e32 v12, vcc, 0, v12, vcc
	v_mul_hi_u32 v16, v10, v14
	v_mul_lo_u32 v14, v10, v14
	v_add_co_u32_e32 v13, vcc, v13, v14
	v_mul_hi_u32 v15, v10, v11
	v_addc_co_u32_e32 v12, vcc, v12, v16, vcc
	v_addc_co_u32_e32 v13, vcc, 0, v15, vcc
	v_mul_lo_u32 v11, v10, v11
	v_add_co_u32_e32 v11, vcc, v12, v11
	v_addc_co_u32_e32 v12, vcc, 0, v13, vcc
	v_add_co_u32_e32 v9, vcc, v9, v11
	v_addc_co_u32_e32 v10, vcc, v10, v12, vcc
	v_mul_lo_u32 v11, s0, v10
	v_mul_hi_u32 v12, s0, v9
	v_add_u32_e32 v11, v12, v11
	v_mul_lo_u32 v12, s1, v9
	v_add_u32_e32 v11, v11, v12
	v_mul_lo_u32 v13, s0, v9
	v_mul_hi_u32 v14, v10, v13
	v_mul_lo_u32 v15, v10, v13
	v_mul_lo_u32 v17, v9, v11
	v_mul_hi_u32 v13, v9, v13
	v_mul_hi_u32 v16, v9, v11
	v_add_co_u32_e32 v13, vcc, v13, v17
	v_addc_co_u32_e32 v16, vcc, 0, v16, vcc
	v_add_co_u32_e32 v13, vcc, v13, v15
	v_mul_hi_u32 v12, v10, v11
	v_addc_co_u32_e32 v13, vcc, v16, v14, vcc
	v_addc_co_u32_e32 v12, vcc, 0, v12, vcc
	v_mul_lo_u32 v11, v10, v11
	v_add_co_u32_e32 v11, vcc, v13, v11
	v_addc_co_u32_e32 v12, vcc, 0, v12, vcc
	v_add_co_u32_e32 v9, vcc, v9, v11
	v_addc_co_u32_e32 v12, vcc, v10, v12, vcc
	v_mad_u64_u32 v[10:11], s[0:1], v1, v12, 0
	v_mul_hi_u32 v13, v1, v9
	v_add_co_u32_e32 v14, vcc, v13, v10
	v_addc_co_u32_e32 v15, vcc, 0, v11, vcc
	v_mad_u64_u32 v[10:11], s[0:1], v3, v12, 0
	v_mad_u64_u32 v[12:13], s[0:1], v3, v9, 0
	v_add_co_u32_e32 v9, vcc, v14, v12
	v_addc_co_u32_e32 v9, vcc, v15, v13, vcc
	v_addc_co_u32_e32 v11, vcc, 0, v11, vcc
	v_add_co_u32_e32 v9, vcc, v9, v10
	v_addc_co_u32_e32 v12, vcc, 0, v11, vcc
	v_mul_lo_u32 v13, s5, v9
	v_mul_lo_u32 v14, s4, v12
	v_mad_u64_u32 v[10:11], s[0:1], s4, v9, 0
	v_add3_u32 v11, v11, v14, v13
	v_sub_u32_e32 v13, v3, v11
	v_mov_b32_e32 v14, s5
	v_sub_co_u32_e32 v1, vcc, v1, v10
	v_subb_co_u32_e64 v10, s[0:1], v13, v14, vcc
	v_subrev_co_u32_e64 v13, s[0:1], s4, v1
	v_subbrev_co_u32_e64 v10, s[0:1], 0, v10, s[0:1]
	v_cmp_le_u32_e64 s[0:1], s5, v10
	v_cndmask_b32_e64 v14, 0, -1, s[0:1]
	v_cmp_le_u32_e64 s[0:1], s4, v13
	v_cndmask_b32_e64 v13, 0, -1, s[0:1]
	v_cmp_eq_u32_e64 s[0:1], s5, v10
	v_cndmask_b32_e64 v10, v14, v13, s[0:1]
	v_add_co_u32_e64 v13, s[0:1], 2, v9
	v_subb_co_u32_e32 v3, vcc, v3, v11, vcc
	v_addc_co_u32_e64 v14, s[0:1], 0, v12, s[0:1]
	v_cmp_le_u32_e32 vcc, s5, v3
	v_add_co_u32_e64 v15, s[0:1], 1, v9
	v_cndmask_b32_e64 v11, 0, -1, vcc
	v_cmp_le_u32_e32 vcc, s4, v1
	v_addc_co_u32_e64 v16, s[0:1], 0, v12, s[0:1]
	v_cndmask_b32_e64 v1, 0, -1, vcc
	v_cmp_eq_u32_e32 vcc, s5, v3
	v_cmp_ne_u32_e64 s[0:1], 0, v10
	v_cndmask_b32_e32 v1, v11, v1, vcc
	v_cndmask_b32_e64 v10, v16, v14, s[0:1]
	v_cmp_ne_u32_e32 vcc, 0, v1
	v_cndmask_b32_e64 v1, v15, v13, s[0:1]
	v_cndmask_b32_e32 v11, v12, v10, vcc
	v_cndmask_b32_e32 v10, v9, v1, vcc
                                        ; implicit-def: $vgpr1
.LBB6_3:
	s_andn2_saveexec_b64 s[0:1], s[38:39]
	s_cbranch_execz .LBB6_5
; %bb.4:
	v_cvt_f32_u32_e32 v3, s4
	s_sub_i32 s38, 0, s4
	v_mov_b32_e32 v11, 0
	v_rcp_iflag_f32_e32 v3, v3
	v_mul_f32_e32 v3, 0x4f7ffffe, v3
	v_cvt_u32_f32_e32 v3, v3
	v_mul_lo_u32 v9, s38, v3
	v_mul_hi_u32 v9, v3, v9
	v_add_u32_e32 v3, v3, v9
	v_mul_hi_u32 v3, v1, v3
	v_mul_lo_u32 v9, v3, s4
	v_sub_u32_e32 v1, v1, v9
	v_add_u32_e32 v10, 1, v3
	v_subrev_u32_e32 v9, s4, v1
	v_cmp_le_u32_e32 vcc, s4, v1
	v_cndmask_b32_e32 v1, v1, v9, vcc
	v_cndmask_b32_e32 v3, v3, v10, vcc
	v_add_u32_e32 v9, 1, v3
	v_cmp_le_u32_e32 vcc, s4, v1
	v_cndmask_b32_e32 v10, v3, v9, vcc
.LBB6_5:
	s_or_b64 exec, exec, s[0:1]
	v_add_co_u32_e32 v1, vcc, v10, v8
	v_addc_co_u32_e32 v3, vcc, 0, v11, vcc
	v_add_co_u32_e32 v8, vcc, 1, v1
	v_addc_co_u32_e32 v9, vcc, 0, v3, vcc
	v_cmp_lt_u64_e32 vcc, 1, v[8:9]
	s_mov_b64 s[42:43], 0
                                        ; implicit-def: $vgpr1
                                        ; implicit-def: $vgpr19
                                        ; implicit-def: $vgpr15
                                        ; implicit-def: $sgpr0_sgpr1
                                        ; implicit-def: $sgpr38_sgpr39
	s_and_saveexec_b64 s[40:41], vcc
	s_xor_b64 s[40:41], exec, s[40:41]
	s_cbranch_execz .LBB6_9
; %bb.6:
	s_lshl_b64 s[38:39], s[6:7], 10
	s_waitcnt lgkmcnt(0)
	s_lshl_b64 s[0:1], s[10:11], 2
	s_add_u32 s38, s38, s0
	s_addc_u32 s39, s39, s1
	s_add_u32 s38, s8, s38
	v_lshlrev_b32_e32 v3, 2, v2
	s_addc_u32 s39, s9, s39
	v_and_b32_e32 v10, -2, v8
	v_mov_b32_e32 v11, v9
	v_mov_b32_e32 v13, s39
	v_add_co_u32_e32 v12, vcc, s38, v3
	s_lshl_b64 s[42:43], s[24:25], 11
	s_lshl_b64 s[38:39], s[24:25], 10
	v_mov_b32_e32 v1, 0
	v_addc_co_u32_e32 v13, vcc, 0, v13, vcc
	s_mov_b64 s[44:45], 0
	v_mov_b32_e32 v3, s47
	v_mov_b32_e32 v16, s46
	;; [unrolled: 1-line block ×5, first 2 shown]
	v_pk_mov_b32 v[14:15], v[10:11], v[10:11] op_sel:[0,1]
	v_mov_b32_e32 v18, s47
	v_mov_b32_e32 v19, s46
.LBB6_7:                                ; =>This Inner Loop Header: Depth=1
	v_add_co_u32_e32 v22, vcc, s38, v12
	v_addc_co_u32_e32 v23, vcc, v13, v20, vcc
	global_load_dword v24, v[12:13], off
	v_add_co_u32_e32 v14, vcc, -2, v14
	global_load_dword v22, v[22:23], off
	v_addc_co_u32_e32 v15, vcc, -1, v15, vcc
	v_add_co_u32_e32 v12, vcc, s42, v12
	v_addc_co_u32_e32 v13, vcc, v13, v21, vcc
	v_cmp_eq_u64_e32 vcc, 0, v[14:15]
	s_or_b64 s[44:45], vcc, s[44:45]
	s_waitcnt vmcnt(1)
	v_add_u32_e32 v17, v24, v17
	v_min_i32_e32 v16, v16, v24
	v_max_i32_e32 v3, v3, v24
	s_waitcnt vmcnt(0)
	v_add_u32_e32 v1, v22, v1
	v_min_i32_e32 v19, v19, v22
	v_max_i32_e32 v18, v18, v22
	s_andn2_b64 exec, exec, s[44:45]
	s_cbranch_execnz .LBB6_7
; %bb.8:
	s_or_b64 exec, exec, s[44:45]
	v_mad_u64_u32 v[6:7], s[42:43], v10, s4, v[6:7]
	v_mul_lo_u32 v12, v10, s5
	v_mul_lo_u32 v13, v11, s4
	v_cmp_ne_u64_e32 vcc, v[8:9], v[10:11]
	v_add3_u32 v7, v13, v7, v12
	v_max_i32_e32 v15, v3, v18
	v_min_i32_e32 v19, v16, v19
	v_add_u32_e32 v1, v17, v1
	s_and_b64 s[42:43], vcc, exec
.LBB6_9:
	s_or_saveexec_b64 s[40:41], s[40:41]
	v_pk_mov_b32 v[10:11], s[0:1], s[0:1] op_sel:[0,1]
	v_pk_mov_b32 v[8:9], s[38:39], s[38:39] op_sel:[0,1]
	s_xor_b64 exec, exec, s[40:41]
	s_cbranch_execz .LBB6_11
; %bb.10:
	s_waitcnt lgkmcnt(0)
	s_lshl_b64 s[0:1], s[10:11], 2
	s_lshl_b64 s[10:11], s[24:25], 10
	v_mov_b32_e32 v1, s33
	v_mov_b32_e32 v19, s46
	;; [unrolled: 1-line block ×3, first 2 shown]
	v_pk_mov_b32 v[10:11], s[0:1], s[0:1] op_sel:[0,1]
	v_pk_mov_b32 v[8:9], s[10:11], s[10:11] op_sel:[0,1]
	s_or_b64 s[42:43], s[42:43], exec
.LBB6_11:
	s_or_b64 exec, exec, s[40:41]
	s_and_saveexec_b64 s[0:1], s[42:43]
	s_cbranch_execz .LBB6_15
; %bb.12:
	v_lshlrev_b64 v[12:13], 2, v[6:7]
	v_add_co_u32_e32 v3, vcc, v12, v10
	v_addc_co_u32_e32 v11, vcc, v13, v11, vcc
	s_waitcnt lgkmcnt(0)
	v_mov_b32_e32 v12, s9
	v_add_co_u32_e32 v10, vcc, s8, v3
	v_addc_co_u32_e32 v11, vcc, v12, v11, vcc
	s_mov_b64 s[8:9], 0
	v_mov_b32_e32 v3, s5
.LBB6_13:                               ; =>This Inner Loop Header: Depth=1
	global_load_dword v12, v[10:11], off
	v_add_co_u32_e32 v10, vcc, v10, v8
	v_addc_co_u32_e32 v11, vcc, v11, v9, vcc
	v_add_co_u32_e32 v6, vcc, s4, v6
	v_addc_co_u32_e32 v7, vcc, v7, v3, vcc
	v_cmp_le_i64_e32 vcc, s[2:3], v[6:7]
	s_or_b64 s[8:9], vcc, s[8:9]
	s_waitcnt vmcnt(0)
	v_add_u32_e32 v1, v12, v1
	v_min_i32_e32 v19, v19, v12
	v_max_i32_e32 v15, v15, v12
	s_andn2_b64 exec, exec, s[8:9]
	s_cbranch_execnz .LBB6_13
; %bb.14:
	s_or_b64 exec, exec, s[8:9]
.LBB6_15:
	s_or_b64 exec, exec, s[0:1]
.LBB6_16:
	s_or_b64 exec, exec, s[36:37]
	v_mbcnt_lo_u32_b32 v3, -1, 0
	v_mbcnt_hi_u32_b32 v16, -1, v3
	v_and_b32_e32 v3, 64, v16
	v_add_u32_e32 v3, 64, v3
	v_xor_b32_e32 v6, 1, v16
	v_cmp_lt_i32_e32 vcc, v6, v3
	v_cndmask_b32_e32 v6, v16, v6, vcc
	v_lshlrev_b32_e32 v8, 2, v6
	ds_bpermute_b32 v6, v8, v1
	v_xor_b32_e32 v7, 2, v16
	v_cmp_lt_i32_e32 vcc, v7, v3
	v_and_b32_e32 v12, 63, v2
	v_cmp_eq_u32_e64 s[0:1], 0, v12
	s_waitcnt lgkmcnt(0)
	v_add_u32_e32 v1, v6, v1
	v_cndmask_b32_e32 v6, v16, v7, vcc
	v_lshlrev_b32_e32 v9, 2, v6
	ds_bpermute_b32 v6, v9, v1
	v_xor_b32_e32 v7, 4, v16
	v_cmp_lt_i32_e32 vcc, v7, v3
	s_waitcnt lgkmcnt(0)
	v_add_u32_e32 v1, v6, v1
	v_cndmask_b32_e32 v6, v16, v7, vcc
	v_lshlrev_b32_e32 v10, 2, v6
	ds_bpermute_b32 v6, v10, v1
	v_xor_b32_e32 v7, 8, v16
	v_cmp_lt_i32_e32 vcc, v7, v3
	;; [unrolled: 7-line block ×4, first 2 shown]
	v_cndmask_b32_e32 v3, v16, v7, vcc
	v_lshlrev_b32_e32 v14, 2, v3
	s_waitcnt lgkmcnt(0)
	v_add_u32_e32 v1, v6, v1
	ds_bpermute_b32 v3, v14, v1
	s_waitcnt lgkmcnt(0)
	v_add_u32_e32 v1, v3, v1
	s_and_saveexec_b64 s[2:3], s[0:1]
	s_cbranch_execz .LBB6_18
; %bb.17:
	v_lshrrev_b32_e32 v3, 4, v2
	ds_write_b32 v3, v1 offset:256
.LBB6_18:
	s_or_b64 exec, exec, s[2:3]
	v_cmp_gt_u32_e64 s[2:3], 64, v2
	s_waitcnt lgkmcnt(0)
	s_barrier
	s_and_saveexec_b64 s[4:5], s[2:3]
	s_cbranch_execz .LBB6_22
; %bb.19:
	v_cmp_gt_u32_e32 vcc, 4, v12
	v_mov_b32_e32 v1, 0
	s_and_saveexec_b64 s[8:9], vcc
	s_cbranch_execz .LBB6_21
; %bb.20:
	v_lshlrev_b32_e32 v1, 2, v12
	ds_read_b32 v1, v1 offset:256
.LBB6_21:
	s_or_b64 exec, exec, s[8:9]
	s_waitcnt lgkmcnt(0)
	ds_bpermute_b32 v3, v8, v1
	s_waitcnt lgkmcnt(0)
	v_add_u32_e32 v1, v3, v1
	ds_bpermute_b32 v3, v9, v1
	s_waitcnt lgkmcnt(0)
	v_add_u32_e32 v1, v3, v1
	;; [unrolled: 3-line block ×4, first 2 shown]
.LBB6_22:
	s_or_b64 exec, exec, s[4:5]
	v_cmp_eq_u32_e64 s[4:5], 0, v2
	v_mov_b32_e32 v3, 0
	v_mov_b32_e32 v6, 0
	s_barrier
	s_and_saveexec_b64 s[8:9], s[4:5]
	s_cbranch_execz .LBB6_24
; %bb.23:
	s_bfe_i64 s[10:11], s[6:7], 0x200000
	s_add_i32 s25, s24, -1
	s_lshl_b64 s[10:11], s[10:11], 2
	s_add_u32 s10, s22, s10
	v_mov_b32_e32 v6, 0
	s_addc_u32 s11, s23, s11
	global_store_dword v6, v1, s[10:11]
	v_mov_b32_e32 v1, s25
	s_waitcnt vmcnt(0)
	buffer_wbinvl1_vol
	global_atomic_inc v1, v6, v1, s[30:31] glc
	s_waitcnt vmcnt(0)
	v_cmp_eq_u32_e32 vcc, s25, v1
	v_cndmask_b32_e64 v6, 0, 1, vcc
.LBB6_24:
	s_or_b64 exec, exec, s[8:9]
	global_load_dword v1, v3, s[34:35] offset:14
	s_waitcnt vmcnt(0)
	v_readfirstlane_b32 s8, v1
	s_lshr_b32 s10, s8, 16
	s_and_b32 s30, s8, 0xffff
	s_cmp_lt_u32 s6, s24
	s_cselect_b32 s8, 12, 18
	s_add_u32 s8, s34, s8
	s_addc_u32 s9, s35, 0
	global_load_ushort v17, v3, s[8:9]
	v_or_b32_dpp v1, v6, v6 row_shl:1 row_mask:0xf bank_mask:0xf bound_ctrl:1
	v_bfe_u32 v3, v0, 10, 10
	v_bfe_u32 v0, v0, 20, 10
	v_or_b32_dpp v1, v1, v1 row_shl:2 row_mask:0xf bank_mask:0xf bound_ctrl:1
	v_mad_u32_u24 v18, v0, s30, v3
	s_waitcnt vmcnt(0)
	v_readfirstlane_b32 s11, v17
	v_or_b32_dpp v1, v1, v1 row_shl:4 row_mask:0xf bank_mask:0xf bound_ctrl:1
	s_mul_i32 s11, s30, s11
	s_bfe_i32 s11, s11, 0x180000
	v_or_b32_dpp v1, v1, v1 row_shl:8 row_mask:0xf bank_mask:0xf bound_ctrl:1
	s_mul_i32 s10, s11, s10
	s_add_i32 s10, s10, 63
	v_mov_b32_dpp v6, v1 wave_shl:1 row_mask:0xf bank_mask:0xf bound_ctrl:1
	s_bitcmp1_b32 exec_hi, 0
	s_nop 0
	v_or_b32_dpp v1, v6, v1 row_mirror row_mask:0xf bank_mask:0xf bound_ctrl:1
	v_readlane_b32 s8, v1, 32
	v_readlane_b32 s9, v1, 0
	s_cselect_b32 s8, s8, 0
	s_and_b32 s31, s10, 0xffffffc0
	s_or_b32 s25, s8, s9
	s_cmp_lg_u32 s31, 64
	v_mov_b32_e32 v1, s25
	s_cselect_b64 s[10:11], -1, 0
	s_cmp_eq_u32 s31, 64
	s_cbranch_scc1 .LBB6_31
; %bb.25:
	v_mad_u64_u32 v[0:1], s[8:9], v18, v17, v[2:3]
	v_lshrrev_b32_e32 v1, 6, v0
	v_or_b32_e32 v1, v1, v16
	v_cmp_eq_u32_e32 vcc, 0, v1
	s_and_saveexec_b64 s[8:9], vcc
	s_cbranch_execz .LBB6_27
; %bb.26:
	v_mov_b32_e32 v1, 0
	v_mov_b32_e32 v3, s25
	ds_write_b32 v1, v3
.LBB6_27:
	s_or_b64 exec, exec, s[8:9]
	v_cmp_eq_u32_e32 vcc, 0, v16
	v_cmp_lt_u32_e64 s[8:9], 63, v0
	s_and_b64 s[30:31], vcc, s[8:9]
	s_waitcnt lgkmcnt(0)
	s_barrier
	s_and_saveexec_b64 s[8:9], s[30:31]
	s_cbranch_execz .LBB6_30
; %bb.28:
	v_mbcnt_lo_u32_b32 v0, exec_lo, 0
	v_mbcnt_hi_u32_b32 v0, exec_hi, v0
	v_cmp_eq_u32_e32 vcc, 0, v0
	s_and_b64 exec, exec, vcc
	s_cbranch_execz .LBB6_30
; %bb.29:
	v_mov_b32_e32 v0, 0
	v_mov_b32_e32 v1, s25
	ds_or_b32 v0, v1
.LBB6_30:
	s_or_b64 exec, exec, s[8:9]
	v_mov_b32_e32 v0, 0
	s_waitcnt lgkmcnt(0)
	s_barrier
	ds_read_b32 v1, v0
	s_waitcnt lgkmcnt(0)
	s_barrier
.LBB6_31:
	v_cmp_eq_u32_e32 vcc, 0, v1
	v_cmp_gt_i32_e64 s[8:9], s24, v2
	s_cbranch_vccnz .LBB6_53
; %bb.32:
	v_mov_b32_e32 v20, 0
	buffer_wbinvl1_vol
	s_and_saveexec_b64 s[30:31], s[8:9]
	s_cbranch_execz .LBB6_44
; %bb.33:
	v_xad_u32 v1, v2, -1, s24
	s_movk_i32 s8, 0xff
	v_cmp_lt_u32_e32 vcc, s8, v1
	s_mov_b64 s[34:35], -1
	v_mov_b32_e32 v3, 0
	v_mov_b32_e32 v0, v2
	v_pk_mov_b32 v[6:7], v[4:5], v[4:5] op_sel:[0,1]
                                        ; implicit-def: $vgpr20
	s_and_saveexec_b64 s[8:9], vcc
	s_cbranch_execz .LBB6_39
; %bb.34:
	v_lshrrev_b32_e32 v0, 8, v1
	v_add_u32_e32 v22, 1, v0
	v_and_b32_e32 v21, 0x1fffffe, v22
	v_add_u32_e32 v3, 0x100, v2
	s_mov_b64 s[34:35], 0
	v_mov_b32_e32 v1, 0
	v_mov_b32_e32 v20, s23
	;; [unrolled: 1-line block ×3, first 2 shown]
	v_pk_mov_b32 v[6:7], v[2:3], v[2:3] op_sel:[0,1]
	v_mov_b32_e32 v3, 0
	v_mov_b32_e32 v24, 0
.LBB6_35:                               ; =>This Inner Loop Header: Depth=1
	v_mov_b32_e32 v0, v6
	v_lshlrev_b64 v[26:27], 2, v[0:1]
	v_mov_b32_e32 v0, v7
	v_add_co_u32_e32 v26, vcc, s22, v26
	v_addc_co_u32_e32 v27, vcc, v20, v27, vcc
	v_lshlrev_b64 v[28:29], 2, v[0:1]
	v_add_co_u32_e32 v28, vcc, s22, v28
	v_addc_co_u32_e32 v29, vcc, v20, v29, vcc
	global_load_dword v0, v[26:27], off
	global_load_dword v25, v[28:29], off
	v_add_u32_e32 v23, -2, v23
	v_cmp_eq_u32_e32 vcc, 0, v23
	v_add_u32_e32 v6, 0x200, v6
	v_add_u32_e32 v7, 0x200, v7
	s_or_b64 s[34:35], vcc, s[34:35]
	s_waitcnt vmcnt(1)
	v_add_u32_e32 v3, v0, v3
	s_waitcnt vmcnt(0)
	v_add_u32_e32 v24, v25, v24
	s_andn2_b64 exec, exec, s[34:35]
	s_cbranch_execnz .LBB6_35
; %bb.36:
	s_or_b64 exec, exec, s[34:35]
	v_add_u32_e32 v20, v3, v24
	v_cmp_ne_u32_e32 vcc, v22, v21
	s_mov_b64 s[34:35], 0
	v_mov_b32_e32 v3, 0
                                        ; kill: def $vgpr0_vgpr1 killed $sgpr0_sgpr1 killed $exec
                                        ; implicit-def: $vgpr0
                                        ; implicit-def: $vgpr6_vgpr7
	s_and_saveexec_b64 s[36:37], vcc
	s_xor_b64 s[36:37], exec, s[36:37]
; %bb.37:
	v_lshl_add_u32 v0, v21, 8, v2
	v_mov_b32_e32 v1, 0
	s_mov_b64 s[34:35], exec
	v_mov_b32_e32 v3, v20
	v_pk_mov_b32 v[6:7], v[0:1], v[0:1] op_sel:[0,1]
; %bb.38:
	s_or_b64 exec, exec, s[36:37]
	s_orn2_b64 s[34:35], s[34:35], exec
.LBB6_39:
	s_or_b64 exec, exec, s[8:9]
	s_and_saveexec_b64 s[8:9], s[34:35]
	s_cbranch_execz .LBB6_43
; %bb.40:
	v_lshlrev_b64 v[6:7], 2, v[6:7]
	v_mov_b32_e32 v1, s23
	v_add_co_u32_e32 v6, vcc, s22, v6
	v_addc_co_u32_e32 v7, vcc, v1, v7, vcc
	s_mov_b64 s[22:23], 0
.LBB6_41:                               ; =>This Inner Loop Header: Depth=1
	global_load_dword v1, v[6:7], off
	v_add_co_u32_e32 v6, vcc, 0x400, v6
	v_add_u32_e32 v0, 0x100, v0
	v_addc_co_u32_e32 v7, vcc, 0, v7, vcc
	v_cmp_le_i32_e32 vcc, s24, v0
	s_or_b64 s[22:23], vcc, s[22:23]
	s_waitcnt vmcnt(0)
	v_add_u32_e32 v3, v1, v3
	s_andn2_b64 exec, exec, s[22:23]
	s_cbranch_execnz .LBB6_41
; %bb.42:
	s_or_b64 exec, exec, s[22:23]
	v_mov_b32_e32 v20, v3
.LBB6_43:
	s_or_b64 exec, exec, s[8:9]
.LBB6_44:
	s_or_b64 exec, exec, s[30:31]
	ds_bpermute_b32 v0, v8, v20
	s_waitcnt lgkmcnt(0)
	v_add_u32_e32 v0, v0, v20
	ds_bpermute_b32 v1, v9, v0
	s_waitcnt lgkmcnt(0)
	v_add_u32_e32 v0, v1, v0
	;; [unrolled: 3-line block ×6, first 2 shown]
	s_and_saveexec_b64 s[8:9], s[0:1]
	s_cbranch_execz .LBB6_46
; %bb.45:
	v_lshrrev_b32_e32 v1, 4, v2
	ds_write_b32 v1, v0 offset:256
.LBB6_46:
	s_or_b64 exec, exec, s[8:9]
	s_waitcnt lgkmcnt(0)
	s_barrier
	s_and_saveexec_b64 s[8:9], s[2:3]
	s_cbranch_execz .LBB6_50
; %bb.47:
	v_cmp_gt_u32_e32 vcc, 4, v12
	v_mov_b32_e32 v0, 0
	s_and_saveexec_b64 s[22:23], vcc
	s_cbranch_execz .LBB6_49
; %bb.48:
	v_lshlrev_b32_e32 v0, 2, v12
	ds_read_b32 v0, v0 offset:256
.LBB6_49:
	s_or_b64 exec, exec, s[22:23]
	s_waitcnt lgkmcnt(0)
	ds_bpermute_b32 v1, v8, v0
	s_waitcnt lgkmcnt(0)
	v_add_u32_e32 v0, v1, v0
	ds_bpermute_b32 v1, v9, v0
	s_waitcnt lgkmcnt(0)
	v_add_u32_e32 v0, v1, v0
	;; [unrolled: 3-line block ×4, first 2 shown]
.LBB6_50:
	s_or_b64 exec, exec, s[8:9]
	s_barrier
	s_and_saveexec_b64 s[8:9], s[4:5]
	s_cbranch_execz .LBB6_52
; %bb.51:
	v_mov_b32_e32 v1, 0
	global_store_dword v1, v0, s[20:21]
.LBB6_52:
	s_or_b64 exec, exec, s[8:9]
.LBB6_53:
	ds_bpermute_b32 v0, v8, v19
	s_waitcnt lgkmcnt(0)
	v_min_i32_e32 v0, v0, v19
	ds_bpermute_b32 v1, v9, v0
	s_waitcnt lgkmcnt(0)
	v_min_i32_e32 v0, v1, v0
	;; [unrolled: 3-line block ×6, first 2 shown]
	s_and_saveexec_b64 s[8:9], s[0:1]
	s_cbranch_execz .LBB6_55
; %bb.54:
	v_lshrrev_b32_e32 v1, 4, v2
	ds_write_b32 v1, v0 offset:384
.LBB6_55:
	s_or_b64 exec, exec, s[8:9]
	s_waitcnt lgkmcnt(0)
	s_barrier
	s_and_saveexec_b64 s[8:9], s[2:3]
	s_cbranch_execz .LBB6_59
; %bb.56:
	v_cmp_gt_u32_e32 vcc, 4, v12
	v_bfrev_b32_e32 v0, -2
	s_and_saveexec_b64 s[20:21], vcc
	s_cbranch_execz .LBB6_58
; %bb.57:
	v_lshlrev_b32_e32 v0, 2, v12
	ds_read_b32 v0, v0 offset:384
.LBB6_58:
	s_or_b64 exec, exec, s[20:21]
	s_waitcnt lgkmcnt(0)
	ds_bpermute_b32 v1, v8, v0
	s_waitcnt lgkmcnt(0)
	v_min_i32_e32 v0, v1, v0
	ds_bpermute_b32 v1, v9, v0
	s_waitcnt lgkmcnt(0)
	v_min_i32_e32 v0, v1, v0
	;; [unrolled: 3-line block ×4, first 2 shown]
.LBB6_59:
	s_or_b64 exec, exec, s[8:9]
	v_mov_b32_e32 v1, 0
	s_barrier
	s_and_saveexec_b64 s[8:9], s[4:5]
	s_cbranch_execz .LBB6_61
; %bb.60:
	s_bfe_i64 s[20:21], s[6:7], 0x200000
	s_add_i32 s22, s24, -1
	s_lshl_b64 s[20:21], s[20:21], 2
	s_add_u32 s20, s18, s20
	v_mov_b32_e32 v1, 0
	s_addc_u32 s21, s19, s21
	global_store_dword v1, v0, s[20:21]
	v_mov_b32_e32 v0, s22
	s_waitcnt vmcnt(0)
	buffer_wbinvl1_vol
	global_atomic_inc v0, v1, v0, s[28:29] glc
	s_waitcnt vmcnt(0)
	v_cmp_eq_u32_e32 vcc, s22, v0
	v_cndmask_b32_e64 v1, 0, 1, vcc
.LBB6_61:
	s_or_b64 exec, exec, s[8:9]
	s_nop 0
	v_or_b32_dpp v0, v1, v1 row_shl:1 row_mask:0xf bank_mask:0xf bound_ctrl:1
	s_bitcmp1_b32 exec_hi, 0
                                        ; kill: def $vgpr3 killed $sgpr0 killed $exec
	s_nop 0
	v_or_b32_dpp v0, v0, v0 row_shl:2 row_mask:0xf bank_mask:0xf bound_ctrl:1
	s_nop 1
	v_or_b32_dpp v0, v0, v0 row_shl:4 row_mask:0xf bank_mask:0xf bound_ctrl:1
	;; [unrolled: 2-line block ×3, first 2 shown]
	s_nop 1
	v_mov_b32_dpp v1, v0 wave_shl:1 row_mask:0xf bank_mask:0xf bound_ctrl:1
	s_nop 1
	v_or_b32_dpp v0, v1, v0 row_mirror row_mask:0xf bank_mask:0xf bound_ctrl:1
	v_readlane_b32 s8, v0, 32
	s_cselect_b32 s8, s8, 0
	v_readlane_b32 s9, v0, 0
	s_or_b32 s20, s8, s9
	v_cndmask_b32_e64 v0, 0, 1, s[10:11]
	v_cmp_ne_u32_e64 s[8:9], 1, v0
	s_andn2_b64 vcc, exec, s[10:11]
	v_mov_b32_e32 v0, s20
	s_cbranch_vccnz .LBB6_68
; %bb.62:
	v_mad_u64_u32 v[0:1], s[10:11], v18, v17, v[2:3]
	v_lshrrev_b32_e32 v1, 6, v0
	v_or_b32_e32 v1, v1, v16
	v_cmp_eq_u32_e32 vcc, 0, v1
	s_and_saveexec_b64 s[10:11], vcc
	s_cbranch_execz .LBB6_64
; %bb.63:
	v_mov_b32_e32 v1, 0
	v_mov_b32_e32 v3, s20
	ds_write_b32 v1, v3
.LBB6_64:
	s_or_b64 exec, exec, s[10:11]
	v_cmp_eq_u32_e32 vcc, 0, v16
	v_cmp_lt_u32_e64 s[10:11], 63, v0
	s_and_b64 s[22:23], vcc, s[10:11]
	s_waitcnt lgkmcnt(0)
	s_barrier
	s_and_saveexec_b64 s[10:11], s[22:23]
	s_cbranch_execz .LBB6_67
; %bb.65:
	v_mbcnt_lo_u32_b32 v0, exec_lo, 0
	v_mbcnt_hi_u32_b32 v0, exec_hi, v0
	v_cmp_eq_u32_e32 vcc, 0, v0
	s_and_b64 exec, exec, vcc
	s_cbranch_execz .LBB6_67
; %bb.66:
	v_mov_b32_e32 v0, 0
	v_mov_b32_e32 v1, s20
	ds_or_b32 v0, v1
.LBB6_67:
	s_or_b64 exec, exec, s[10:11]
	v_mov_b32_e32 v0, 0
	s_waitcnt lgkmcnt(0)
	s_barrier
	ds_read_b32 v0, v0
	s_waitcnt lgkmcnt(0)
	s_barrier
.LBB6_68:
	v_cmp_eq_u32_e32 vcc, 0, v0
	s_cbranch_vccnz .LBB6_90
; %bb.69:
	v_cmp_gt_i32_e32 vcc, s24, v2
	v_bfrev_b32_e32 v19, -2
	s_waitcnt vmcnt(0)
	buffer_wbinvl1_vol
	s_and_saveexec_b64 s[10:11], vcc
	s_cbranch_execz .LBB6_81
; %bb.70:
	v_xad_u32 v1, v2, -1, s24
	s_movk_i32 s20, 0xff
	v_cmp_lt_u32_e32 vcc, s20, v1
	s_mov_b64 s[22:23], -1
	v_bfrev_b32_e32 v3, -2
	v_mov_b32_e32 v0, v2
	v_pk_mov_b32 v[6:7], v[4:5], v[4:5] op_sel:[0,1]
                                        ; implicit-def: $vgpr19
	s_and_saveexec_b64 s[20:21], vcc
	s_cbranch_execz .LBB6_76
; %bb.71:
	v_lshrrev_b32_e32 v0, 8, v1
	v_add_u32_e32 v21, 1, v0
	v_and_b32_e32 v20, 0x1fffffe, v21
	v_add_u32_e32 v3, 0x100, v2
	s_mov_b64 s[22:23], 0
	v_bfrev_b32_e32 v19, -2
	v_mov_b32_e32 v22, s19
	v_mov_b32_e32 v1, 0
	;; [unrolled: 1-line block ×3, first 2 shown]
	v_pk_mov_b32 v[6:7], v[2:3], v[2:3] op_sel:[0,1]
	v_bfrev_b32_e32 v3, -2
.LBB6_72:                               ; =>This Inner Loop Header: Depth=1
	v_mov_b32_e32 v0, v6
	v_lshlrev_b64 v[24:25], 2, v[0:1]
	v_mov_b32_e32 v0, v7
	v_add_co_u32_e32 v24, vcc, s18, v24
	v_addc_co_u32_e32 v25, vcc, v22, v25, vcc
	v_lshlrev_b64 v[26:27], 2, v[0:1]
	v_add_co_u32_e32 v26, vcc, s18, v26
	v_addc_co_u32_e32 v27, vcc, v22, v27, vcc
	global_load_dword v0, v[24:25], off
	global_load_dword v28, v[26:27], off
	v_add_u32_e32 v23, -2, v23
	v_cmp_eq_u32_e32 vcc, 0, v23
	v_add_u32_e32 v6, 0x200, v6
	v_add_u32_e32 v7, 0x200, v7
	s_or_b64 s[22:23], vcc, s[22:23]
	s_waitcnt vmcnt(1)
	v_min_i32_e32 v19, v0, v19
	s_waitcnt vmcnt(0)
	v_min_i32_e32 v3, v28, v3
	s_andn2_b64 exec, exec, s[22:23]
	s_cbranch_execnz .LBB6_72
; %bb.73:
	s_or_b64 exec, exec, s[22:23]
	v_min_i32_e32 v19, v19, v3
	v_cmp_ne_u32_e32 vcc, v21, v20
	s_mov_b64 s[22:23], 0
	v_bfrev_b32_e32 v3, -2
                                        ; kill: def $vgpr0_vgpr1 killed $sgpr0_sgpr1 killed $exec
                                        ; implicit-def: $vgpr0
                                        ; implicit-def: $vgpr6_vgpr7
	s_and_saveexec_b64 s[28:29], vcc
	s_xor_b64 s[28:29], exec, s[28:29]
; %bb.74:
	v_lshl_add_u32 v0, v20, 8, v2
	v_mov_b32_e32 v1, 0
	s_mov_b64 s[22:23], exec
	v_mov_b32_e32 v3, v19
	v_pk_mov_b32 v[6:7], v[0:1], v[0:1] op_sel:[0,1]
; %bb.75:
	s_or_b64 exec, exec, s[28:29]
	s_orn2_b64 s[22:23], s[22:23], exec
.LBB6_76:
	s_or_b64 exec, exec, s[20:21]
	s_and_saveexec_b64 s[20:21], s[22:23]
	s_cbranch_execz .LBB6_80
; %bb.77:
	v_lshlrev_b64 v[6:7], 2, v[6:7]
	v_mov_b32_e32 v1, s19
	v_add_co_u32_e32 v6, vcc, s18, v6
	v_addc_co_u32_e32 v7, vcc, v1, v7, vcc
	s_mov_b64 s[18:19], 0
.LBB6_78:                               ; =>This Inner Loop Header: Depth=1
	global_load_dword v1, v[6:7], off
	v_add_co_u32_e32 v6, vcc, 0x400, v6
	v_add_u32_e32 v0, 0x100, v0
	v_addc_co_u32_e32 v7, vcc, 0, v7, vcc
	v_cmp_le_i32_e32 vcc, s24, v0
	s_or_b64 s[18:19], vcc, s[18:19]
	s_waitcnt vmcnt(0)
	v_min_i32_e32 v3, v1, v3
	s_andn2_b64 exec, exec, s[18:19]
	s_cbranch_execnz .LBB6_78
; %bb.79:
	s_or_b64 exec, exec, s[18:19]
	v_mov_b32_e32 v19, v3
.LBB6_80:
	s_or_b64 exec, exec, s[20:21]
.LBB6_81:
	s_or_b64 exec, exec, s[10:11]
	ds_bpermute_b32 v0, v8, v19
	s_waitcnt lgkmcnt(0)
	v_min_i32_e32 v0, v0, v19
	ds_bpermute_b32 v1, v9, v0
	s_waitcnt lgkmcnt(0)
	v_min_i32_e32 v0, v1, v0
	;; [unrolled: 3-line block ×6, first 2 shown]
	s_and_saveexec_b64 s[10:11], s[0:1]
	s_cbranch_execz .LBB6_83
; %bb.82:
	v_lshrrev_b32_e32 v1, 4, v2
	ds_write_b32 v1, v0 offset:384
.LBB6_83:
	s_or_b64 exec, exec, s[10:11]
	s_waitcnt lgkmcnt(0)
	s_barrier
	s_and_saveexec_b64 s[10:11], s[2:3]
	s_cbranch_execz .LBB6_87
; %bb.84:
	v_cmp_gt_u32_e32 vcc, 4, v12
	v_bfrev_b32_e32 v0, -2
	s_and_saveexec_b64 s[18:19], vcc
	s_cbranch_execz .LBB6_86
; %bb.85:
	v_lshlrev_b32_e32 v0, 2, v12
	ds_read_b32 v0, v0 offset:384
.LBB6_86:
	s_or_b64 exec, exec, s[18:19]
	s_waitcnt lgkmcnt(0)
	ds_bpermute_b32 v1, v8, v0
	s_waitcnt lgkmcnt(0)
	v_min_i32_e32 v0, v1, v0
	ds_bpermute_b32 v1, v9, v0
	s_waitcnt lgkmcnt(0)
	v_min_i32_e32 v0, v1, v0
	;; [unrolled: 3-line block ×4, first 2 shown]
.LBB6_87:
	s_or_b64 exec, exec, s[10:11]
	s_barrier
	s_and_saveexec_b64 s[10:11], s[4:5]
	s_cbranch_execz .LBB6_89
; %bb.88:
	v_mov_b32_e32 v1, 0
	global_store_dword v1, v0, s[16:17]
.LBB6_89:
	s_or_b64 exec, exec, s[10:11]
.LBB6_90:
	ds_bpermute_b32 v0, v8, v15
	s_waitcnt lgkmcnt(0)
	v_max_i32_e32 v0, v15, v0
	ds_bpermute_b32 v1, v9, v0
	s_waitcnt lgkmcnt(0)
	v_max_i32_e32 v0, v0, v1
	ds_bpermute_b32 v1, v10, v0
	s_waitcnt lgkmcnt(0)
	v_max_i32_e32 v0, v0, v1
	ds_bpermute_b32 v1, v11, v0
	s_waitcnt lgkmcnt(0)
	v_max_i32_e32 v0, v0, v1
	ds_bpermute_b32 v1, v13, v0
	s_waitcnt lgkmcnt(0)
	v_max_i32_e32 v0, v0, v1
	ds_bpermute_b32 v1, v14, v0
	s_waitcnt lgkmcnt(0)
	v_max_i32_e32 v0, v0, v1
	s_and_saveexec_b64 s[10:11], s[0:1]
	s_cbranch_execz .LBB6_92
; %bb.91:
	v_lshrrev_b32_e32 v1, 4, v2
	ds_write_b32 v1, v0 offset:320
.LBB6_92:
	s_or_b64 exec, exec, s[10:11]
	s_waitcnt lgkmcnt(0)
	s_barrier
	s_and_saveexec_b64 s[10:11], s[2:3]
	s_cbranch_execz .LBB6_96
; %bb.93:
	v_cmp_gt_u32_e32 vcc, 4, v12
	v_bfrev_b32_e32 v0, 1
	s_and_saveexec_b64 s[16:17], vcc
	s_cbranch_execz .LBB6_95
; %bb.94:
	v_lshlrev_b32_e32 v0, 2, v12
	ds_read_b32 v0, v0 offset:320
.LBB6_95:
	s_or_b64 exec, exec, s[16:17]
	s_waitcnt lgkmcnt(0)
	ds_bpermute_b32 v1, v8, v0
	s_waitcnt lgkmcnt(0)
	v_max_i32_e32 v0, v0, v1
	ds_bpermute_b32 v1, v9, v0
	s_waitcnt lgkmcnt(0)
	v_max_i32_e32 v0, v0, v1
	;; [unrolled: 3-line block ×4, first 2 shown]
.LBB6_96:
	s_or_b64 exec, exec, s[10:11]
	v_mov_b32_e32 v1, 0
	s_barrier
	s_and_saveexec_b64 s[10:11], s[4:5]
	s_cbranch_execz .LBB6_98
; %bb.97:
	s_bfe_i64 s[6:7], s[6:7], 0x200000
	s_add_i32 s16, s24, -1
	s_lshl_b64 s[6:7], s[6:7], 2
	s_add_u32 s6, s14, s6
	v_mov_b32_e32 v1, 0
	s_addc_u32 s7, s15, s7
	global_store_dword v1, v0, s[6:7]
	v_mov_b32_e32 v0, s16
	s_waitcnt vmcnt(0)
	buffer_wbinvl1_vol
	global_atomic_inc v0, v1, v0, s[26:27] glc
	s_waitcnt vmcnt(0)
	v_cmp_eq_u32_e32 vcc, s16, v0
	v_cndmask_b32_e64 v1, 0, 1, vcc
.LBB6_98:
	s_or_b64 exec, exec, s[10:11]
	s_nop 0
	v_or_b32_dpp v0, v1, v1 row_shl:1 row_mask:0xf bank_mask:0xf bound_ctrl:1
	s_bitcmp1_b32 exec_hi, 0
                                        ; kill: def $vgpr3 killed $sgpr0 killed $exec
	s_nop 0
	v_or_b32_dpp v0, v0, v0 row_shl:2 row_mask:0xf bank_mask:0xf bound_ctrl:1
	s_nop 1
	v_or_b32_dpp v0, v0, v0 row_shl:4 row_mask:0xf bank_mask:0xf bound_ctrl:1
	s_nop 1
	v_or_b32_dpp v0, v0, v0 row_shl:8 row_mask:0xf bank_mask:0xf bound_ctrl:1
	s_nop 1
	v_mov_b32_dpp v1, v0 wave_shl:1 row_mask:0xf bank_mask:0xf bound_ctrl:1
	s_nop 1
	v_or_b32_dpp v0, v1, v0 row_mirror row_mask:0xf bank_mask:0xf bound_ctrl:1
	v_readlane_b32 s6, v0, 32
	s_cselect_b32 s6, s6, 0
	v_readlane_b32 s7, v0, 0
	s_or_b32 s10, s6, s7
	s_and_b64 vcc, exec, s[8:9]
	v_mov_b32_e32 v0, s10
	s_cbranch_vccnz .LBB6_105
; %bb.99:
	v_mad_u64_u32 v[0:1], s[6:7], v18, v17, v[2:3]
	v_lshrrev_b32_e32 v1, 6, v0
	v_or_b32_e32 v1, v1, v16
	v_cmp_eq_u32_e32 vcc, 0, v1
	s_and_saveexec_b64 s[6:7], vcc
	s_cbranch_execz .LBB6_101
; %bb.100:
	v_mov_b32_e32 v1, 0
	v_mov_b32_e32 v3, s10
	ds_write_b32 v1, v3
.LBB6_101:
	s_or_b64 exec, exec, s[6:7]
	v_cmp_eq_u32_e32 vcc, 0, v16
	v_cmp_lt_u32_e64 s[6:7], 63, v0
	s_and_b64 s[8:9], vcc, s[6:7]
	s_waitcnt lgkmcnt(0)
	s_barrier
	s_and_saveexec_b64 s[6:7], s[8:9]
	s_cbranch_execz .LBB6_104
; %bb.102:
	v_mbcnt_lo_u32_b32 v0, exec_lo, 0
	v_mbcnt_hi_u32_b32 v0, exec_hi, v0
	v_cmp_eq_u32_e32 vcc, 0, v0
	s_and_b64 exec, exec, vcc
	s_cbranch_execz .LBB6_104
; %bb.103:
	v_mov_b32_e32 v0, 0
	v_mov_b32_e32 v1, s10
	ds_or_b32 v0, v1
.LBB6_104:
	s_or_b64 exec, exec, s[6:7]
	v_mov_b32_e32 v0, 0
	s_waitcnt lgkmcnt(0)
	s_barrier
	ds_read_b32 v0, v0
	s_waitcnt lgkmcnt(0)
	s_barrier
.LBB6_105:
	v_cmp_eq_u32_e32 vcc, 0, v0
	s_cbranch_vccnz .LBB6_126
; %bb.106:
	v_cmp_gt_i32_e32 vcc, s24, v2
	v_bfrev_b32_e32 v6, 1
	s_waitcnt vmcnt(0)
	buffer_wbinvl1_vol
	s_and_saveexec_b64 s[6:7], vcc
	s_cbranch_execz .LBB6_118
; %bb.107:
	v_xad_u32 v1, v2, -1, s24
	s_movk_i32 s8, 0xff
	v_cmp_lt_u32_e32 vcc, s8, v1
	s_mov_b64 s[10:11], -1
	v_bfrev_b32_e32 v3, 1
	v_mov_b32_e32 v0, v2
                                        ; implicit-def: $vgpr6
	s_and_saveexec_b64 s[8:9], vcc
	s_cbranch_execz .LBB6_113
; %bb.108:
	v_lshrrev_b32_e32 v0, 8, v1
	v_add_u32_e32 v15, 1, v0
	v_and_b32_e32 v7, 0x1fffffe, v15
	v_add_u32_e32 v3, 0x100, v2
	s_mov_b64 s[10:11], 0
	v_bfrev_b32_e32 v6, 1
	v_mov_b32_e32 v16, s15
	v_mov_b32_e32 v1, 0
	;; [unrolled: 1-line block ×3, first 2 shown]
	v_pk_mov_b32 v[4:5], v[2:3], v[2:3] op_sel:[0,1]
	v_bfrev_b32_e32 v3, 1
.LBB6_109:                              ; =>This Inner Loop Header: Depth=1
	v_mov_b32_e32 v0, v4
	v_lshlrev_b64 v[18:19], 2, v[0:1]
	v_mov_b32_e32 v0, v5
	v_add_co_u32_e32 v18, vcc, s14, v18
	v_addc_co_u32_e32 v19, vcc, v16, v19, vcc
	v_lshlrev_b64 v[20:21], 2, v[0:1]
	v_add_co_u32_e32 v20, vcc, s14, v20
	v_addc_co_u32_e32 v21, vcc, v16, v21, vcc
	global_load_dword v0, v[18:19], off
	global_load_dword v22, v[20:21], off
	v_add_u32_e32 v17, -2, v17
	v_cmp_eq_u32_e32 vcc, 0, v17
	v_add_u32_e32 v4, 0x200, v4
	v_add_u32_e32 v5, 0x200, v5
	s_or_b64 s[10:11], vcc, s[10:11]
	s_waitcnt vmcnt(1)
	v_max_i32_e32 v6, v6, v0
	s_waitcnt vmcnt(0)
	v_max_i32_e32 v3, v3, v22
	s_andn2_b64 exec, exec, s[10:11]
	s_cbranch_execnz .LBB6_109
; %bb.110:
	s_or_b64 exec, exec, s[10:11]
	v_max_i32_e32 v6, v6, v3
	v_cmp_ne_u32_e32 vcc, v15, v7
	s_mov_b64 s[10:11], 0
	v_bfrev_b32_e32 v3, 1
                                        ; kill: def $vgpr0_vgpr1 killed $sgpr0_sgpr1 killed $exec
                                        ; implicit-def: $vgpr0
                                        ; implicit-def: $vgpr4_vgpr5
	s_and_saveexec_b64 s[16:17], vcc
	s_xor_b64 s[16:17], exec, s[16:17]
; %bb.111:
	v_lshl_add_u32 v0, v7, 8, v2
	v_mov_b32_e32 v1, 0
	s_mov_b64 s[10:11], exec
	v_mov_b32_e32 v3, v6
	v_pk_mov_b32 v[4:5], v[0:1], v[0:1] op_sel:[0,1]
; %bb.112:
	s_or_b64 exec, exec, s[16:17]
	s_orn2_b64 s[10:11], s[10:11], exec
.LBB6_113:
	s_or_b64 exec, exec, s[8:9]
	s_and_saveexec_b64 s[8:9], s[10:11]
	s_cbranch_execz .LBB6_117
; %bb.114:
	v_lshlrev_b64 v[4:5], 2, v[4:5]
	v_mov_b32_e32 v1, s15
	v_add_co_u32_e32 v4, vcc, s14, v4
	v_addc_co_u32_e32 v5, vcc, v1, v5, vcc
	s_mov_b64 s[10:11], 0
.LBB6_115:                              ; =>This Inner Loop Header: Depth=1
	global_load_dword v1, v[4:5], off
	v_add_co_u32_e32 v4, vcc, 0x400, v4
	v_add_u32_e32 v0, 0x100, v0
	v_addc_co_u32_e32 v5, vcc, 0, v5, vcc
	v_cmp_le_i32_e32 vcc, s24, v0
	s_or_b64 s[10:11], vcc, s[10:11]
	s_waitcnt vmcnt(0)
	v_max_i32_e32 v3, v3, v1
	s_andn2_b64 exec, exec, s[10:11]
	s_cbranch_execnz .LBB6_115
; %bb.116:
	s_or_b64 exec, exec, s[10:11]
	v_mov_b32_e32 v6, v3
.LBB6_117:
	s_or_b64 exec, exec, s[8:9]
.LBB6_118:
	s_or_b64 exec, exec, s[6:7]
	ds_bpermute_b32 v0, v8, v6
	s_waitcnt lgkmcnt(0)
	v_max_i32_e32 v0, v6, v0
	ds_bpermute_b32 v1, v9, v0
	s_waitcnt lgkmcnt(0)
	v_max_i32_e32 v0, v0, v1
	;; [unrolled: 3-line block ×6, first 2 shown]
	s_and_saveexec_b64 s[6:7], s[0:1]
	s_cbranch_execz .LBB6_120
; %bb.119:
	v_lshrrev_b32_e32 v1, 4, v2
	ds_write_b32 v1, v0 offset:320
.LBB6_120:
	s_or_b64 exec, exec, s[6:7]
	s_waitcnt lgkmcnt(0)
	s_barrier
	s_and_saveexec_b64 s[0:1], s[2:3]
	s_cbranch_execz .LBB6_124
; %bb.121:
	v_cmp_gt_u32_e32 vcc, 4, v12
	v_bfrev_b32_e32 v0, 1
	s_and_saveexec_b64 s[2:3], vcc
	s_cbranch_execz .LBB6_123
; %bb.122:
	v_lshlrev_b32_e32 v0, 2, v12
	ds_read_b32 v0, v0 offset:320
.LBB6_123:
	s_or_b64 exec, exec, s[2:3]
	s_waitcnt lgkmcnt(0)
	ds_bpermute_b32 v1, v8, v0
	s_waitcnt lgkmcnt(0)
	v_max_i32_e32 v0, v0, v1
	ds_bpermute_b32 v1, v9, v0
	s_waitcnt lgkmcnt(0)
	v_max_i32_e32 v0, v0, v1
	;; [unrolled: 3-line block ×4, first 2 shown]
.LBB6_124:
	s_or_b64 exec, exec, s[0:1]
	s_barrier
	s_and_saveexec_b64 s[0:1], s[4:5]
	s_cbranch_execz .LBB6_126
; %bb.125:
	v_mov_b32_e32 v1, 0
	global_store_dword v1, v0, s[12:13]
.LBB6_126:
	s_endpgm
	.section	.rodata,"a",@progbits
	.p2align	6, 0x0
	.amdhsa_kernel _ZN4RAJA6policy3hip4impl18forallp_hip_kernelINS1_8hip_execINS_17iteration_mapping11StridedLoopILm0EEENS_3hip11IndexGlobalILNS_9named_dimE0ELi256ELi0EEENS8_40AvoidDeviceMaxThreadOccupancyConcretizerINS8_34FractionOffsetOccupancyConcretizerINS_8FractionImLm1ELm1EEELln1EEEEELb1EEENS_9Iterators16numeric_iteratorIllPlEEZN8rajaperf5basic11REDUCE3_INT26runHipVariantRAJANewReduceILm256ENSN_11gpu_mapping40global_loop_occupancy_grid_stride_helperEEEvNSN_9VariantIDEEUllRNS_4expt5ValOpIiNS_9operators4plusEEERNSV_IiNSW_7minimumEEERNSV_IiNSW_7maximumEEEE_lNSU_15ForallParamPackIJNSU_6detail7ReducerINSX_IiiiEEiSY_EENS19_INS10_IiiiEEiS11_EENS19_INS13_IiiiEEiS14_EEEEES7_SB_TnNSt9enable_ifIXaaaasr3std10is_base_ofINS5_15StridedLoopBaseET4_EE5valuesr3std10is_base_ofINS5_15UnsizedLoopBaseES1J_EE5valuegtsrT5_10block_sizeLi0EEmE4typeELm256EEEvT1_T0_T2_T3_
		.amdhsa_group_segment_fixed_size 448
		.amdhsa_private_segment_fixed_size 0
		.amdhsa_kernarg_size 400
		.amdhsa_user_sgpr_count 6
		.amdhsa_user_sgpr_private_segment_buffer 1
		.amdhsa_user_sgpr_dispatch_ptr 0
		.amdhsa_user_sgpr_queue_ptr 0
		.amdhsa_user_sgpr_kernarg_segment_ptr 1
		.amdhsa_user_sgpr_dispatch_id 0
		.amdhsa_user_sgpr_flat_scratch_init 0
		.amdhsa_user_sgpr_kernarg_preload_length 0
		.amdhsa_user_sgpr_kernarg_preload_offset 0
		.amdhsa_user_sgpr_private_segment_size 0
		.amdhsa_uses_dynamic_stack 0
		.amdhsa_system_sgpr_private_segment_wavefront_offset 0
		.amdhsa_system_sgpr_workgroup_id_x 1
		.amdhsa_system_sgpr_workgroup_id_y 0
		.amdhsa_system_sgpr_workgroup_id_z 0
		.amdhsa_system_sgpr_workgroup_info 0
		.amdhsa_system_vgpr_workitem_id 2
		.amdhsa_next_free_vgpr 30
		.amdhsa_next_free_sgpr 48
		.amdhsa_accum_offset 32
		.amdhsa_reserve_vcc 1
		.amdhsa_reserve_flat_scratch 0
		.amdhsa_float_round_mode_32 0
		.amdhsa_float_round_mode_16_64 0
		.amdhsa_float_denorm_mode_32 3
		.amdhsa_float_denorm_mode_16_64 3
		.amdhsa_dx10_clamp 1
		.amdhsa_ieee_mode 1
		.amdhsa_fp16_overflow 0
		.amdhsa_tg_split 0
		.amdhsa_exception_fp_ieee_invalid_op 0
		.amdhsa_exception_fp_denorm_src 0
		.amdhsa_exception_fp_ieee_div_zero 0
		.amdhsa_exception_fp_ieee_overflow 0
		.amdhsa_exception_fp_ieee_underflow 0
		.amdhsa_exception_fp_ieee_inexact 0
		.amdhsa_exception_int_div_zero 0
	.end_amdhsa_kernel
	.section	.text._ZN4RAJA6policy3hip4impl18forallp_hip_kernelINS1_8hip_execINS_17iteration_mapping11StridedLoopILm0EEENS_3hip11IndexGlobalILNS_9named_dimE0ELi256ELi0EEENS8_40AvoidDeviceMaxThreadOccupancyConcretizerINS8_34FractionOffsetOccupancyConcretizerINS_8FractionImLm1ELm1EEELln1EEEEELb1EEENS_9Iterators16numeric_iteratorIllPlEEZN8rajaperf5basic11REDUCE3_INT26runHipVariantRAJANewReduceILm256ENSN_11gpu_mapping40global_loop_occupancy_grid_stride_helperEEEvNSN_9VariantIDEEUllRNS_4expt5ValOpIiNS_9operators4plusEEERNSV_IiNSW_7minimumEEERNSV_IiNSW_7maximumEEEE_lNSU_15ForallParamPackIJNSU_6detail7ReducerINSX_IiiiEEiSY_EENS19_INS10_IiiiEEiS11_EENS19_INS13_IiiiEEiS14_EEEEES7_SB_TnNSt9enable_ifIXaaaasr3std10is_base_ofINS5_15StridedLoopBaseET4_EE5valuesr3std10is_base_ofINS5_15UnsizedLoopBaseES1J_EE5valuegtsrT5_10block_sizeLi0EEmE4typeELm256EEEvT1_T0_T2_T3_,"axG",@progbits,_ZN4RAJA6policy3hip4impl18forallp_hip_kernelINS1_8hip_execINS_17iteration_mapping11StridedLoopILm0EEENS_3hip11IndexGlobalILNS_9named_dimE0ELi256ELi0EEENS8_40AvoidDeviceMaxThreadOccupancyConcretizerINS8_34FractionOffsetOccupancyConcretizerINS_8FractionImLm1ELm1EEELln1EEEEELb1EEENS_9Iterators16numeric_iteratorIllPlEEZN8rajaperf5basic11REDUCE3_INT26runHipVariantRAJANewReduceILm256ENSN_11gpu_mapping40global_loop_occupancy_grid_stride_helperEEEvNSN_9VariantIDEEUllRNS_4expt5ValOpIiNS_9operators4plusEEERNSV_IiNSW_7minimumEEERNSV_IiNSW_7maximumEEEE_lNSU_15ForallParamPackIJNSU_6detail7ReducerINSX_IiiiEEiSY_EENS19_INS10_IiiiEEiS11_EENS19_INS13_IiiiEEiS14_EEEEES7_SB_TnNSt9enable_ifIXaaaasr3std10is_base_ofINS5_15StridedLoopBaseET4_EE5valuesr3std10is_base_ofINS5_15UnsizedLoopBaseES1J_EE5valuegtsrT5_10block_sizeLi0EEmE4typeELm256EEEvT1_T0_T2_T3_,comdat
.Lfunc_end6:
	.size	_ZN4RAJA6policy3hip4impl18forallp_hip_kernelINS1_8hip_execINS_17iteration_mapping11StridedLoopILm0EEENS_3hip11IndexGlobalILNS_9named_dimE0ELi256ELi0EEENS8_40AvoidDeviceMaxThreadOccupancyConcretizerINS8_34FractionOffsetOccupancyConcretizerINS_8FractionImLm1ELm1EEELln1EEEEELb1EEENS_9Iterators16numeric_iteratorIllPlEEZN8rajaperf5basic11REDUCE3_INT26runHipVariantRAJANewReduceILm256ENSN_11gpu_mapping40global_loop_occupancy_grid_stride_helperEEEvNSN_9VariantIDEEUllRNS_4expt5ValOpIiNS_9operators4plusEEERNSV_IiNSW_7minimumEEERNSV_IiNSW_7maximumEEEE_lNSU_15ForallParamPackIJNSU_6detail7ReducerINSX_IiiiEEiSY_EENS19_INS10_IiiiEEiS11_EENS19_INS13_IiiiEEiS14_EEEEES7_SB_TnNSt9enable_ifIXaaaasr3std10is_base_ofINS5_15StridedLoopBaseET4_EE5valuesr3std10is_base_ofINS5_15UnsizedLoopBaseES1J_EE5valuegtsrT5_10block_sizeLi0EEmE4typeELm256EEEvT1_T0_T2_T3_, .Lfunc_end6-_ZN4RAJA6policy3hip4impl18forallp_hip_kernelINS1_8hip_execINS_17iteration_mapping11StridedLoopILm0EEENS_3hip11IndexGlobalILNS_9named_dimE0ELi256ELi0EEENS8_40AvoidDeviceMaxThreadOccupancyConcretizerINS8_34FractionOffsetOccupancyConcretizerINS_8FractionImLm1ELm1EEELln1EEEEELb1EEENS_9Iterators16numeric_iteratorIllPlEEZN8rajaperf5basic11REDUCE3_INT26runHipVariantRAJANewReduceILm256ENSN_11gpu_mapping40global_loop_occupancy_grid_stride_helperEEEvNSN_9VariantIDEEUllRNS_4expt5ValOpIiNS_9operators4plusEEERNSV_IiNSW_7minimumEEERNSV_IiNSW_7maximumEEEE_lNSU_15ForallParamPackIJNSU_6detail7ReducerINSX_IiiiEEiSY_EENS19_INS10_IiiiEEiS11_EENS19_INS13_IiiiEEiS14_EEEEES7_SB_TnNSt9enable_ifIXaaaasr3std10is_base_ofINS5_15StridedLoopBaseET4_EE5valuesr3std10is_base_ofINS5_15UnsizedLoopBaseES1J_EE5valuegtsrT5_10block_sizeLi0EEmE4typeELm256EEEvT1_T0_T2_T3_
                                        ; -- End function
	.section	.AMDGPU.csdata,"",@progbits
; Kernel info:
; codeLenInByte = 5572
; NumSgprs: 52
; NumVgprs: 30
; NumAgprs: 0
; TotalNumVgprs: 30
; ScratchSize: 0
; MemoryBound: 0
; FloatMode: 240
; IeeeMode: 1
; LDSByteSize: 448 bytes/workgroup (compile time only)
; SGPRBlocks: 6
; VGPRBlocks: 3
; NumSGPRsForWavesPerEU: 52
; NumVGPRsForWavesPerEU: 30
; AccumOffset: 32
; Occupancy: 8
; WaveLimiterHint : 0
; COMPUTE_PGM_RSRC2:SCRATCH_EN: 0
; COMPUTE_PGM_RSRC2:USER_SGPR: 6
; COMPUTE_PGM_RSRC2:TRAP_HANDLER: 0
; COMPUTE_PGM_RSRC2:TGID_X_EN: 1
; COMPUTE_PGM_RSRC2:TGID_Y_EN: 0
; COMPUTE_PGM_RSRC2:TGID_Z_EN: 0
; COMPUTE_PGM_RSRC2:TIDIG_COMP_CNT: 2
; COMPUTE_PGM_RSRC3_GFX90A:ACCUM_OFFSET: 7
; COMPUTE_PGM_RSRC3_GFX90A:TG_SPLIT: 0
	.text
	.p2alignl 6, 3212836864
	.fill 256, 4, 3212836864
	.type	__hip_cuid_5f14a5ff1ca01837,@object ; @__hip_cuid_5f14a5ff1ca01837
	.section	.bss,"aw",@nobits
	.globl	__hip_cuid_5f14a5ff1ca01837
__hip_cuid_5f14a5ff1ca01837:
	.byte	0                               ; 0x0
	.size	__hip_cuid_5f14a5ff1ca01837, 1

	.ident	"AMD clang version 19.0.0git (https://github.com/RadeonOpenCompute/llvm-project roc-6.4.0 25133 c7fe45cf4b819c5991fe208aaa96edf142730f1d)"
	.section	".note.GNU-stack","",@progbits
	.addrsig
	.addrsig_sym __hip_cuid_5f14a5ff1ca01837
	.amdgpu_metadata
---
amdhsa.kernels:
  - .agpr_count:     0
    .args:
      - .address_space:  global
        .offset:         0
        .size:           8
        .value_kind:     global_buffer
      - .address_space:  global
        .offset:         8
        .size:           8
        .value_kind:     global_buffer
      - .offset:         16
        .size:           4
        .value_kind:     by_value
      - .address_space:  global
        .offset:         24
        .size:           8
        .value_kind:     global_buffer
      - .offset:         32
        .size:           4
        .value_kind:     by_value
      - .address_space:  global
        .offset:         40
        .size:           8
        .value_kind:     global_buffer
      - .offset:         48
        .size:           4
        .value_kind:     by_value
      - .offset:         56
        .size:           8
        .value_kind:     by_value
      - .offset:         64
        .size:           4
        .value_kind:     hidden_block_count_x
      - .offset:         68
        .size:           4
        .value_kind:     hidden_block_count_y
      - .offset:         72
        .size:           4
        .value_kind:     hidden_block_count_z
      - .offset:         76
        .size:           2
        .value_kind:     hidden_group_size_x
      - .offset:         78
        .size:           2
        .value_kind:     hidden_group_size_y
      - .offset:         80
        .size:           2
        .value_kind:     hidden_group_size_z
      - .offset:         82
        .size:           2
        .value_kind:     hidden_remainder_x
      - .offset:         84
        .size:           2
        .value_kind:     hidden_remainder_y
      - .offset:         86
        .size:           2
        .value_kind:     hidden_remainder_z
      - .offset:         104
        .size:           8
        .value_kind:     hidden_global_offset_x
      - .offset:         112
        .size:           8
        .value_kind:     hidden_global_offset_y
      - .offset:         120
        .size:           8
        .value_kind:     hidden_global_offset_z
      - .offset:         128
        .size:           2
        .value_kind:     hidden_grid_dims
      - .offset:         184
        .size:           4
        .value_kind:     hidden_dynamic_lds_size
    .group_segment_fixed_size: 0
    .kernarg_segment_align: 8
    .kernarg_segment_size: 320
    .language:       OpenCL C
    .language_version:
      - 2
      - 0
    .max_flat_workgroup_size: 256
    .name:           _ZN8rajaperf5basic10reduce3intILm256EEEvPiS2_iS2_iS2_il
    .private_segment_fixed_size: 0
    .sgpr_count:     24
    .sgpr_spill_count: 0
    .symbol:         _ZN8rajaperf5basic10reduce3intILm256EEEvPiS2_iS2_iS2_il.kd
    .uniform_work_group_size: 1
    .uses_dynamic_stack: false
    .vgpr_count:     12
    .vgpr_spill_count: 0
    .wavefront_size: 64
  - .agpr_count:     0
    .args:
      - .offset:         0
        .size:           104
        .value_kind:     by_value
      - .offset:         104
        .size:           8
        .value_kind:     by_value
      - .offset:         112
        .size:           8
        .value_kind:     by_value
      - .offset:         120
        .size:           1
        .value_kind:     by_value
      - .offset:         128
        .size:           4
        .value_kind:     hidden_block_count_x
      - .offset:         132
        .size:           4
        .value_kind:     hidden_block_count_y
      - .offset:         136
        .size:           4
        .value_kind:     hidden_block_count_z
      - .offset:         140
        .size:           2
        .value_kind:     hidden_group_size_x
      - .offset:         142
        .size:           2
        .value_kind:     hidden_group_size_y
      - .offset:         144
        .size:           2
        .value_kind:     hidden_group_size_z
      - .offset:         146
        .size:           2
        .value_kind:     hidden_remainder_x
      - .offset:         148
        .size:           2
        .value_kind:     hidden_remainder_y
      - .offset:         150
        .size:           2
        .value_kind:     hidden_remainder_z
      - .offset:         168
        .size:           8
        .value_kind:     hidden_global_offset_x
      - .offset:         176
        .size:           8
        .value_kind:     hidden_global_offset_y
      - .offset:         184
        .size:           8
        .value_kind:     hidden_global_offset_z
      - .offset:         192
        .size:           2
        .value_kind:     hidden_grid_dims
    .group_segment_fixed_size: 192
    .kernarg_segment_align: 8
    .kernarg_segment_size: 384
    .language:       OpenCL C
    .language_version:
      - 2
      - 0
    .max_flat_workgroup_size: 256
    .name:           _ZN4RAJA6policy3hip4impl18forallp_hip_kernelINS1_8hip_execINS_17iteration_mapping6DirectENS_3hip11IndexGlobalILNS_9named_dimE0ELi256ELi0EEENS7_40AvoidDeviceMaxThreadOccupancyConcretizerINS7_34FractionOffsetOccupancyConcretizerINS_8FractionImLm1ELm1EEELln1EEEEELb1EEENS_9Iterators16numeric_iteratorIllPlEEZN8rajaperf5basic11REDUCE3_INT17runHipVariantRAJAILm256ENSM_13gpu_algorithm19block_atomic_helperENSM_11gpu_mapping20global_direct_helperEEEvNSM_9VariantIDEEUllE_lNS_4expt15ForallParamPackIJEEES6_SA_TnNSt9enable_ifIXaasr3std10is_base_ofINS5_10DirectBaseET4_EE5valuegtsrT5_10block_sizeLi0EEmE4typeELm256EEEvT1_T0_T2_T3_
    .private_segment_fixed_size: 0
    .sgpr_count:     26
    .sgpr_spill_count: 0
    .symbol:         _ZN4RAJA6policy3hip4impl18forallp_hip_kernelINS1_8hip_execINS_17iteration_mapping6DirectENS_3hip11IndexGlobalILNS_9named_dimE0ELi256ELi0EEENS7_40AvoidDeviceMaxThreadOccupancyConcretizerINS7_34FractionOffsetOccupancyConcretizerINS_8FractionImLm1ELm1EEELln1EEEEELb1EEENS_9Iterators16numeric_iteratorIllPlEEZN8rajaperf5basic11REDUCE3_INT17runHipVariantRAJAILm256ENSM_13gpu_algorithm19block_atomic_helperENSM_11gpu_mapping20global_direct_helperEEEvNSM_9VariantIDEEUllE_lNS_4expt15ForallParamPackIJEEES6_SA_TnNSt9enable_ifIXaasr3std10is_base_ofINS5_10DirectBaseET4_EE5valuegtsrT5_10block_sizeLi0EEmE4typeELm256EEEvT1_T0_T2_T3_.kd
    .uniform_work_group_size: 1
    .uses_dynamic_stack: false
    .vgpr_count:     16
    .vgpr_spill_count: 0
    .wavefront_size: 64
  - .agpr_count:     0
    .args:
      - .offset:         0
        .size:           152
        .value_kind:     by_value
      - .offset:         152
        .size:           8
        .value_kind:     by_value
      - .offset:         160
        .size:           8
        .value_kind:     by_value
      - .offset:         168
        .size:           1
        .value_kind:     by_value
      - .offset:         176
        .size:           4
        .value_kind:     hidden_block_count_x
      - .offset:         180
        .size:           4
        .value_kind:     hidden_block_count_y
      - .offset:         184
        .size:           4
        .value_kind:     hidden_block_count_z
      - .offset:         188
        .size:           2
        .value_kind:     hidden_group_size_x
      - .offset:         190
        .size:           2
        .value_kind:     hidden_group_size_y
      - .offset:         192
        .size:           2
        .value_kind:     hidden_group_size_z
      - .offset:         194
        .size:           2
        .value_kind:     hidden_remainder_x
      - .offset:         196
        .size:           2
        .value_kind:     hidden_remainder_y
      - .offset:         198
        .size:           2
        .value_kind:     hidden_remainder_z
      - .offset:         216
        .size:           8
        .value_kind:     hidden_global_offset_x
      - .offset:         224
        .size:           8
        .value_kind:     hidden_global_offset_y
      - .offset:         232
        .size:           8
        .value_kind:     hidden_global_offset_z
      - .offset:         240
        .size:           2
        .value_kind:     hidden_grid_dims
    .group_segment_fixed_size: 195
    .kernarg_segment_align: 8
    .kernarg_segment_size: 432
    .language:       OpenCL C
    .language_version:
      - 2
      - 0
    .max_flat_workgroup_size: 256
    .name:           _ZN4RAJA6policy3hip4impl18forallp_hip_kernelINS1_8hip_execINS_17iteration_mapping6DirectENS_3hip11IndexGlobalILNS_9named_dimE0ELi256ELi0EEENS7_40AvoidDeviceMaxThreadOccupancyConcretizerINS7_34FractionOffsetOccupancyConcretizerINS_8FractionImLm1ELm1EEELln1EEEEELb1EEENS_9Iterators16numeric_iteratorIllPlEEZN8rajaperf5basic11REDUCE3_INT17runHipVariantRAJAILm256ENSM_13gpu_algorithm19block_device_helperENSM_11gpu_mapping20global_direct_helperEEEvNSM_9VariantIDEEUllE_lNS_4expt15ForallParamPackIJEEES6_SA_TnNSt9enable_ifIXaasr3std10is_base_ofINS5_10DirectBaseET4_EE5valuegtsrT5_10block_sizeLi0EEmE4typeELm256EEEvT1_T0_T2_T3_
    .private_segment_fixed_size: 0
    .sgpr_count:     42
    .sgpr_spill_count: 0
    .symbol:         _ZN4RAJA6policy3hip4impl18forallp_hip_kernelINS1_8hip_execINS_17iteration_mapping6DirectENS_3hip11IndexGlobalILNS_9named_dimE0ELi256ELi0EEENS7_40AvoidDeviceMaxThreadOccupancyConcretizerINS7_34FractionOffsetOccupancyConcretizerINS_8FractionImLm1ELm1EEELln1EEEEELb1EEENS_9Iterators16numeric_iteratorIllPlEEZN8rajaperf5basic11REDUCE3_INT17runHipVariantRAJAILm256ENSM_13gpu_algorithm19block_device_helperENSM_11gpu_mapping20global_direct_helperEEEvNSM_9VariantIDEEUllE_lNS_4expt15ForallParamPackIJEEES6_SA_TnNSt9enable_ifIXaasr3std10is_base_ofINS5_10DirectBaseET4_EE5valuegtsrT5_10block_sizeLi0EEmE4typeELm256EEEvT1_T0_T2_T3_.kd
    .uniform_work_group_size: 1
    .uses_dynamic_stack: false
    .vgpr_count:     20
    .vgpr_spill_count: 0
    .wavefront_size: 64
  - .agpr_count:     0
    .args:
      - .address_space:  global
        .offset:         0
        .size:           8
        .value_kind:     global_buffer
      - .offset:         8
        .size:           8
        .value_kind:     by_value
      - .offset:         16
        .size:           8
        .value_kind:     by_value
      - .offset:         24
        .size:           120
        .value_kind:     by_value
      - .offset:         144
        .size:           4
        .value_kind:     hidden_block_count_x
      - .offset:         148
        .size:           4
        .value_kind:     hidden_block_count_y
      - .offset:         152
        .size:           4
        .value_kind:     hidden_block_count_z
      - .offset:         156
        .size:           2
        .value_kind:     hidden_group_size_x
      - .offset:         158
        .size:           2
        .value_kind:     hidden_group_size_y
      - .offset:         160
        .size:           2
        .value_kind:     hidden_group_size_z
      - .offset:         162
        .size:           2
        .value_kind:     hidden_remainder_x
      - .offset:         164
        .size:           2
        .value_kind:     hidden_remainder_y
      - .offset:         166
        .size:           2
        .value_kind:     hidden_remainder_z
      - .offset:         184
        .size:           8
        .value_kind:     hidden_global_offset_x
      - .offset:         192
        .size:           8
        .value_kind:     hidden_global_offset_y
      - .offset:         200
        .size:           8
        .value_kind:     hidden_global_offset_z
      - .offset:         208
        .size:           2
        .value_kind:     hidden_grid_dims
    .group_segment_fixed_size: 448
    .kernarg_segment_align: 8
    .kernarg_segment_size: 400
    .language:       OpenCL C
    .language_version:
      - 2
      - 0
    .max_flat_workgroup_size: 256
    .name:           _ZN4RAJA6policy3hip4impl18forallp_hip_kernelINS1_8hip_execINS_17iteration_mapping6DirectENS_3hip11IndexGlobalILNS_9named_dimE0ELi256ELi0EEENS7_40AvoidDeviceMaxThreadOccupancyConcretizerINS7_34FractionOffsetOccupancyConcretizerINS_8FractionImLm1ELm1EEELln1EEEEELb1EEENS_9Iterators16numeric_iteratorIllPlEEZN8rajaperf5basic11REDUCE3_INT26runHipVariantRAJANewReduceILm256ENSM_11gpu_mapping20global_direct_helperEEEvNSM_9VariantIDEEUllRNS_4expt5ValOpIiNS_9operators4plusEEERNSU_IiNSV_7minimumEEERNSU_IiNSV_7maximumEEEE_lNST_15ForallParamPackIJNST_6detail7ReducerINSW_IiiiEEiSX_EENS18_INSZ_IiiiEEiS10_EENS18_INS12_IiiiEEiS13_EEEEES6_SA_TnNSt9enable_ifIXaasr3std10is_base_ofINS5_10DirectBaseET4_EE5valuegtsrT5_10block_sizeLi0EEmE4typeELm256EEEvT1_T0_T2_T3_
    .private_segment_fixed_size: 0
    .sgpr_count:     40
    .sgpr_spill_count: 0
    .symbol:         _ZN4RAJA6policy3hip4impl18forallp_hip_kernelINS1_8hip_execINS_17iteration_mapping6DirectENS_3hip11IndexGlobalILNS_9named_dimE0ELi256ELi0EEENS7_40AvoidDeviceMaxThreadOccupancyConcretizerINS7_34FractionOffsetOccupancyConcretizerINS_8FractionImLm1ELm1EEELln1EEEEELb1EEENS_9Iterators16numeric_iteratorIllPlEEZN8rajaperf5basic11REDUCE3_INT26runHipVariantRAJANewReduceILm256ENSM_11gpu_mapping20global_direct_helperEEEvNSM_9VariantIDEEUllRNS_4expt5ValOpIiNS_9operators4plusEEERNSU_IiNSV_7minimumEEERNSU_IiNSV_7maximumEEEE_lNST_15ForallParamPackIJNST_6detail7ReducerINSW_IiiiEEiSX_EENS18_INSZ_IiiiEEiS10_EENS18_INS12_IiiiEEiS13_EEEEES6_SA_TnNSt9enable_ifIXaasr3std10is_base_ofINS5_10DirectBaseET4_EE5valuegtsrT5_10block_sizeLi0EEmE4typeELm256EEEvT1_T0_T2_T3_.kd
    .uniform_work_group_size: 1
    .uses_dynamic_stack: false
    .vgpr_count:     29
    .vgpr_spill_count: 0
    .wavefront_size: 64
  - .agpr_count:     0
    .args:
      - .offset:         0
        .size:           104
        .value_kind:     by_value
      - .offset:         104
        .size:           8
        .value_kind:     by_value
      - .offset:         112
        .size:           8
        .value_kind:     by_value
      - .offset:         120
        .size:           1
        .value_kind:     by_value
      - .offset:         128
        .size:           4
        .value_kind:     hidden_block_count_x
      - .offset:         132
        .size:           4
        .value_kind:     hidden_block_count_y
      - .offset:         136
        .size:           4
        .value_kind:     hidden_block_count_z
      - .offset:         140
        .size:           2
        .value_kind:     hidden_group_size_x
      - .offset:         142
        .size:           2
        .value_kind:     hidden_group_size_y
      - .offset:         144
        .size:           2
        .value_kind:     hidden_group_size_z
      - .offset:         146
        .size:           2
        .value_kind:     hidden_remainder_x
      - .offset:         148
        .size:           2
        .value_kind:     hidden_remainder_y
      - .offset:         150
        .size:           2
        .value_kind:     hidden_remainder_z
      - .offset:         168
        .size:           8
        .value_kind:     hidden_global_offset_x
      - .offset:         176
        .size:           8
        .value_kind:     hidden_global_offset_y
      - .offset:         184
        .size:           8
        .value_kind:     hidden_global_offset_z
      - .offset:         192
        .size:           2
        .value_kind:     hidden_grid_dims
    .group_segment_fixed_size: 192
    .kernarg_segment_align: 8
    .kernarg_segment_size: 384
    .language:       OpenCL C
    .language_version:
      - 2
      - 0
    .max_flat_workgroup_size: 256
    .name:           _ZN4RAJA6policy3hip4impl18forallp_hip_kernelINS1_8hip_execINS_17iteration_mapping11StridedLoopILm0EEENS_3hip11IndexGlobalILNS_9named_dimE0ELi256ELi0EEENS8_40AvoidDeviceMaxThreadOccupancyConcretizerINS8_34FractionOffsetOccupancyConcretizerINS_8FractionImLm1ELm1EEELln1EEEEELb1EEENS_9Iterators16numeric_iteratorIllPlEEZN8rajaperf5basic11REDUCE3_INT17runHipVariantRAJAILm256ENSN_13gpu_algorithm19block_atomic_helperENSN_11gpu_mapping40global_loop_occupancy_grid_stride_helperEEEvNSN_9VariantIDEEUllE_lNS_4expt15ForallParamPackIJEEES7_SB_TnNSt9enable_ifIXaaaasr3std10is_base_ofINS5_15StridedLoopBaseET4_EE5valuesr3std10is_base_ofINS5_15UnsizedLoopBaseES12_EE5valuegtsrT5_10block_sizeLi0EEmE4typeELm256EEEvT1_T0_T2_T3_
    .private_segment_fixed_size: 0
    .sgpr_count:     40
    .sgpr_spill_count: 0
    .symbol:         _ZN4RAJA6policy3hip4impl18forallp_hip_kernelINS1_8hip_execINS_17iteration_mapping11StridedLoopILm0EEENS_3hip11IndexGlobalILNS_9named_dimE0ELi256ELi0EEENS8_40AvoidDeviceMaxThreadOccupancyConcretizerINS8_34FractionOffsetOccupancyConcretizerINS_8FractionImLm1ELm1EEELln1EEEEELb1EEENS_9Iterators16numeric_iteratorIllPlEEZN8rajaperf5basic11REDUCE3_INT17runHipVariantRAJAILm256ENSN_13gpu_algorithm19block_atomic_helperENSN_11gpu_mapping40global_loop_occupancy_grid_stride_helperEEEvNSN_9VariantIDEEUllE_lNS_4expt15ForallParamPackIJEEES7_SB_TnNSt9enable_ifIXaaaasr3std10is_base_ofINS5_15StridedLoopBaseET4_EE5valuesr3std10is_base_ofINS5_15UnsizedLoopBaseES12_EE5valuegtsrT5_10block_sizeLi0EEmE4typeELm256EEEvT1_T0_T2_T3_.kd
    .uniform_work_group_size: 1
    .uses_dynamic_stack: false
    .vgpr_count:     23
    .vgpr_spill_count: 0
    .wavefront_size: 64
  - .agpr_count:     0
    .args:
      - .offset:         0
        .size:           152
        .value_kind:     by_value
      - .offset:         152
        .size:           8
        .value_kind:     by_value
      - .offset:         160
        .size:           8
        .value_kind:     by_value
      - .offset:         168
        .size:           1
        .value_kind:     by_value
      - .offset:         176
        .size:           4
        .value_kind:     hidden_block_count_x
      - .offset:         180
        .size:           4
        .value_kind:     hidden_block_count_y
      - .offset:         184
        .size:           4
        .value_kind:     hidden_block_count_z
      - .offset:         188
        .size:           2
        .value_kind:     hidden_group_size_x
      - .offset:         190
        .size:           2
        .value_kind:     hidden_group_size_y
      - .offset:         192
        .size:           2
        .value_kind:     hidden_group_size_z
      - .offset:         194
        .size:           2
        .value_kind:     hidden_remainder_x
      - .offset:         196
        .size:           2
        .value_kind:     hidden_remainder_y
      - .offset:         198
        .size:           2
        .value_kind:     hidden_remainder_z
      - .offset:         216
        .size:           8
        .value_kind:     hidden_global_offset_x
      - .offset:         224
        .size:           8
        .value_kind:     hidden_global_offset_y
      - .offset:         232
        .size:           8
        .value_kind:     hidden_global_offset_z
      - .offset:         240
        .size:           2
        .value_kind:     hidden_grid_dims
    .group_segment_fixed_size: 195
    .kernarg_segment_align: 8
    .kernarg_segment_size: 432
    .language:       OpenCL C
    .language_version:
      - 2
      - 0
    .max_flat_workgroup_size: 256
    .name:           _ZN4RAJA6policy3hip4impl18forallp_hip_kernelINS1_8hip_execINS_17iteration_mapping11StridedLoopILm0EEENS_3hip11IndexGlobalILNS_9named_dimE0ELi256ELi0EEENS8_40AvoidDeviceMaxThreadOccupancyConcretizerINS8_34FractionOffsetOccupancyConcretizerINS_8FractionImLm1ELm1EEELln1EEEEELb1EEENS_9Iterators16numeric_iteratorIllPlEEZN8rajaperf5basic11REDUCE3_INT17runHipVariantRAJAILm256ENSN_13gpu_algorithm19block_device_helperENSN_11gpu_mapping40global_loop_occupancy_grid_stride_helperEEEvNSN_9VariantIDEEUllE_lNS_4expt15ForallParamPackIJEEES7_SB_TnNSt9enable_ifIXaaaasr3std10is_base_ofINS5_15StridedLoopBaseET4_EE5valuesr3std10is_base_ofINS5_15UnsizedLoopBaseES12_EE5valuegtsrT5_10block_sizeLi0EEmE4typeELm256EEEvT1_T0_T2_T3_
    .private_segment_fixed_size: 0
    .sgpr_count:     52
    .sgpr_spill_count: 0
    .symbol:         _ZN4RAJA6policy3hip4impl18forallp_hip_kernelINS1_8hip_execINS_17iteration_mapping11StridedLoopILm0EEENS_3hip11IndexGlobalILNS_9named_dimE0ELi256ELi0EEENS8_40AvoidDeviceMaxThreadOccupancyConcretizerINS8_34FractionOffsetOccupancyConcretizerINS_8FractionImLm1ELm1EEELln1EEEEELb1EEENS_9Iterators16numeric_iteratorIllPlEEZN8rajaperf5basic11REDUCE3_INT17runHipVariantRAJAILm256ENSN_13gpu_algorithm19block_device_helperENSN_11gpu_mapping40global_loop_occupancy_grid_stride_helperEEEvNSN_9VariantIDEEUllE_lNS_4expt15ForallParamPackIJEEES7_SB_TnNSt9enable_ifIXaaaasr3std10is_base_ofINS5_15StridedLoopBaseET4_EE5valuesr3std10is_base_ofINS5_15UnsizedLoopBaseES12_EE5valuegtsrT5_10block_sizeLi0EEmE4typeELm256EEEvT1_T0_T2_T3_.kd
    .uniform_work_group_size: 1
    .uses_dynamic_stack: false
    .vgpr_count:     23
    .vgpr_spill_count: 0
    .wavefront_size: 64
  - .agpr_count:     0
    .args:
      - .address_space:  global
        .offset:         0
        .size:           8
        .value_kind:     global_buffer
      - .offset:         8
        .size:           8
        .value_kind:     by_value
      - .offset:         16
        .size:           8
        .value_kind:     by_value
      - .offset:         24
        .size:           120
        .value_kind:     by_value
      - .offset:         144
        .size:           4
        .value_kind:     hidden_block_count_x
      - .offset:         148
        .size:           4
        .value_kind:     hidden_block_count_y
      - .offset:         152
        .size:           4
        .value_kind:     hidden_block_count_z
      - .offset:         156
        .size:           2
        .value_kind:     hidden_group_size_x
      - .offset:         158
        .size:           2
        .value_kind:     hidden_group_size_y
      - .offset:         160
        .size:           2
        .value_kind:     hidden_group_size_z
      - .offset:         162
        .size:           2
        .value_kind:     hidden_remainder_x
      - .offset:         164
        .size:           2
        .value_kind:     hidden_remainder_y
      - .offset:         166
        .size:           2
        .value_kind:     hidden_remainder_z
      - .offset:         184
        .size:           8
        .value_kind:     hidden_global_offset_x
      - .offset:         192
        .size:           8
        .value_kind:     hidden_global_offset_y
      - .offset:         200
        .size:           8
        .value_kind:     hidden_global_offset_z
      - .offset:         208
        .size:           2
        .value_kind:     hidden_grid_dims
    .group_segment_fixed_size: 448
    .kernarg_segment_align: 8
    .kernarg_segment_size: 400
    .language:       OpenCL C
    .language_version:
      - 2
      - 0
    .max_flat_workgroup_size: 256
    .name:           _ZN4RAJA6policy3hip4impl18forallp_hip_kernelINS1_8hip_execINS_17iteration_mapping11StridedLoopILm0EEENS_3hip11IndexGlobalILNS_9named_dimE0ELi256ELi0EEENS8_40AvoidDeviceMaxThreadOccupancyConcretizerINS8_34FractionOffsetOccupancyConcretizerINS_8FractionImLm1ELm1EEELln1EEEEELb1EEENS_9Iterators16numeric_iteratorIllPlEEZN8rajaperf5basic11REDUCE3_INT26runHipVariantRAJANewReduceILm256ENSN_11gpu_mapping40global_loop_occupancy_grid_stride_helperEEEvNSN_9VariantIDEEUllRNS_4expt5ValOpIiNS_9operators4plusEEERNSV_IiNSW_7minimumEEERNSV_IiNSW_7maximumEEEE_lNSU_15ForallParamPackIJNSU_6detail7ReducerINSX_IiiiEEiSY_EENS19_INS10_IiiiEEiS11_EENS19_INS13_IiiiEEiS14_EEEEES7_SB_TnNSt9enable_ifIXaaaasr3std10is_base_ofINS5_15StridedLoopBaseET4_EE5valuesr3std10is_base_ofINS5_15UnsizedLoopBaseES1J_EE5valuegtsrT5_10block_sizeLi0EEmE4typeELm256EEEvT1_T0_T2_T3_
    .private_segment_fixed_size: 0
    .sgpr_count:     52
    .sgpr_spill_count: 0
    .symbol:         _ZN4RAJA6policy3hip4impl18forallp_hip_kernelINS1_8hip_execINS_17iteration_mapping11StridedLoopILm0EEENS_3hip11IndexGlobalILNS_9named_dimE0ELi256ELi0EEENS8_40AvoidDeviceMaxThreadOccupancyConcretizerINS8_34FractionOffsetOccupancyConcretizerINS_8FractionImLm1ELm1EEELln1EEEEELb1EEENS_9Iterators16numeric_iteratorIllPlEEZN8rajaperf5basic11REDUCE3_INT26runHipVariantRAJANewReduceILm256ENSN_11gpu_mapping40global_loop_occupancy_grid_stride_helperEEEvNSN_9VariantIDEEUllRNS_4expt5ValOpIiNS_9operators4plusEEERNSV_IiNSW_7minimumEEERNSV_IiNSW_7maximumEEEE_lNSU_15ForallParamPackIJNSU_6detail7ReducerINSX_IiiiEEiSY_EENS19_INS10_IiiiEEiS11_EENS19_INS13_IiiiEEiS14_EEEEES7_SB_TnNSt9enable_ifIXaaaasr3std10is_base_ofINS5_15StridedLoopBaseET4_EE5valuesr3std10is_base_ofINS5_15UnsizedLoopBaseES1J_EE5valuegtsrT5_10block_sizeLi0EEmE4typeELm256EEEvT1_T0_T2_T3_.kd
    .uniform_work_group_size: 1
    .uses_dynamic_stack: false
    .vgpr_count:     30
    .vgpr_spill_count: 0
    .wavefront_size: 64
amdhsa.target:   amdgcn-amd-amdhsa--gfx90a
amdhsa.version:
  - 1
  - 2
...

	.end_amdgpu_metadata
